;; amdgpu-corpus repo=ROCm/rocFFT kind=compiled arch=gfx1201 opt=O3
	.text
	.amdgcn_target "amdgcn-amd-amdhsa--gfx1201"
	.amdhsa_code_object_version 6
	.protected	bluestein_single_fwd_len78_dim1_half_op_CI_CI ; -- Begin function bluestein_single_fwd_len78_dim1_half_op_CI_CI
	.globl	bluestein_single_fwd_len78_dim1_half_op_CI_CI
	.p2align	8
	.type	bluestein_single_fwd_len78_dim1_half_op_CI_CI,@function
bluestein_single_fwd_len78_dim1_half_op_CI_CI: ; @bluestein_single_fwd_len78_dim1_half_op_CI_CI
; %bb.0:
	s_load_b128 s[16:19], s[0:1], 0x28
	v_mul_u32_u24_e32 v1, 0x13b2, v0
	s_mov_b32 s2, exec_lo
	s_delay_alu instid0(VALU_DEP_1) | instskip(NEXT) | instid1(VALU_DEP_1)
	v_lshrrev_b32_e32 v1, 16, v1
	v_mad_co_u64_u32 v[12:13], null, ttmp9, 19, v[1:2]
	v_mov_b32_e32 v13, 0
	s_wait_kmcnt 0x0
	s_delay_alu instid0(VALU_DEP_1)
	v_cmpx_gt_u64_e64 s[16:17], v[12:13]
	s_cbranch_execz .LBB0_10
; %bb.1:
	s_clause 0x1
	s_load_b128 s[4:7], s[0:1], 0x18
	s_load_b128 s[8:11], s[0:1], 0x0
	v_mul_lo_u16 v1, v1, 13
	s_load_b64 s[0:1], s[0:1], 0x38
                                        ; implicit-def: $vgpr23
                                        ; implicit-def: $vgpr75
                                        ; implicit-def: $vgpr24
                                        ; implicit-def: $vgpr85
                                        ; implicit-def: $vgpr86
                                        ; implicit-def: $vgpr26
                                        ; implicit-def: $vgpr81
                                        ; implicit-def: $vgpr87
                                        ; implicit-def: $vgpr77
                                        ; implicit-def: $vgpr88
                                        ; implicit-def: $vgpr76
	s_delay_alu instid0(VALU_DEP_1) | instskip(NEXT) | instid1(VALU_DEP_1)
	v_sub_nc_u16 v7, v0, v1
	v_and_b32_e32 v38, 0xffff, v7
	s_wait_kmcnt 0x0
	s_load_b128 s[12:15], s[4:5], 0x0
	s_wait_kmcnt 0x0
	v_mad_co_u64_u32 v[0:1], null, s14, v12, 0
	v_mad_co_u64_u32 v[2:3], null, s12, v38, 0
	s_mul_u64 s[2:3], s[12:13], 52
	s_delay_alu instid0(VALU_DEP_1) | instskip(NEXT) | instid1(VALU_DEP_1)
	v_mad_co_u64_u32 v[4:5], null, s15, v12, v[1:2]
	v_mov_b32_e32 v1, v4
	s_delay_alu instid0(VALU_DEP_3)
	v_mad_co_u64_u32 v[5:6], null, s13, v38, v[3:4]
	v_lshlrev_b32_e32 v46, 2, v38
	s_clause 0x5
	global_load_b32 v41, v46, s[8:9]
	global_load_b32 v40, v46, s[8:9] offset:52
	global_load_b32 v39, v46, s[8:9] offset:104
	;; [unrolled: 1-line block ×5, first 2 shown]
	v_mov_b32_e32 v3, v5
	v_lshlrev_b64_e32 v[0:1], 2, v[0:1]
	s_delay_alu instid0(VALU_DEP_2) | instskip(NEXT) | instid1(VALU_DEP_2)
	v_lshlrev_b64_e32 v[2:3], 2, v[2:3]
	v_add_co_u32 v0, vcc_lo, s18, v0
	s_delay_alu instid0(VALU_DEP_3) | instskip(NEXT) | instid1(VALU_DEP_2)
	v_add_co_ci_u32_e32 v1, vcc_lo, s19, v1, vcc_lo
	v_add_co_u32 v0, vcc_lo, v0, v2
	s_wait_alu 0xfffd
	s_delay_alu instid0(VALU_DEP_2) | instskip(NEXT) | instid1(VALU_DEP_2)
	v_add_co_ci_u32_e32 v1, vcc_lo, v1, v3, vcc_lo
	v_add_co_u32 v2, vcc_lo, v0, s2
	s_wait_alu 0xfffd
	s_delay_alu instid0(VALU_DEP_2)
	v_add_co_ci_u32_e32 v3, vcc_lo, s3, v1, vcc_lo
	s_clause 0x1
	global_load_b32 v4, v[0:1], off
	global_load_b32 v5, v[2:3], off
	v_add_co_u32 v0, vcc_lo, v2, s2
	s_wait_alu 0xfffd
	v_add_co_ci_u32_e32 v1, vcc_lo, s3, v3, vcc_lo
	s_delay_alu instid0(VALU_DEP_2) | instskip(SKIP_1) | instid1(VALU_DEP_2)
	v_add_co_u32 v2, vcc_lo, v0, s2
	s_wait_alu 0xfffd
	v_add_co_ci_u32_e32 v3, vcc_lo, s3, v1, vcc_lo
	s_clause 0x1
	global_load_b32 v6, v[0:1], off
	global_load_b32 v8, v[2:3], off
	v_add_co_u32 v0, vcc_lo, v2, s2
	s_wait_alu 0xfffd
	v_add_co_ci_u32_e32 v1, vcc_lo, s3, v3, vcc_lo
	s_delay_alu instid0(VALU_DEP_2) | instskip(SKIP_1) | instid1(VALU_DEP_2)
	v_add_co_u32 v2, vcc_lo, v0, s2
	s_wait_alu 0xfffd
	v_add_co_ci_u32_e32 v3, vcc_lo, s3, v1, vcc_lo
	global_load_b32 v0, v[0:1], off
	global_load_b32 v1, v[2:3], off
	v_mul_hi_u32 v2, 0xaf286bcb, v12
	s_load_b128 s[4:7], s[6:7], 0x0
	v_cmp_gt_u16_e32 vcc_lo, 6, v7
	s_delay_alu instid0(VALU_DEP_2) | instskip(NEXT) | instid1(VALU_DEP_1)
	v_sub_nc_u32_e32 v3, v12, v2
	v_lshrrev_b32_e32 v3, 1, v3
	s_delay_alu instid0(VALU_DEP_1) | instskip(NEXT) | instid1(VALU_DEP_1)
	v_add_nc_u32_e32 v2, v3, v2
	v_lshrrev_b32_e32 v2, 4, v2
	s_delay_alu instid0(VALU_DEP_1) | instskip(NEXT) | instid1(VALU_DEP_1)
	v_mul_lo_u32 v2, v2, 19
	v_sub_nc_u32_e32 v2, v12, v2
	s_delay_alu instid0(VALU_DEP_1) | instskip(NEXT) | instid1(VALU_DEP_1)
	v_mul_u32_u24_e32 v2, 0x4e, v2
	v_lshlrev_b32_e32 v45, 2, v2
	s_delay_alu instid0(VALU_DEP_1)
	v_add_nc_u32_e32 v36, v46, v45
	s_wait_loadcnt 0xb
	v_lshrrev_b32_e32 v44, 16, v41
	s_wait_loadcnt 0xa
	v_lshrrev_b32_e32 v43, 16, v40
	;; [unrolled: 2-line block ×7, first 2 shown]
	v_mul_f16_e32 v3, v44, v4
	s_wait_loadcnt 0x4
	v_lshrrev_b32_e32 v10, 16, v5
	v_mul_f16_e32 v11, v43, v5
	v_mul_f16_e32 v9, v44, v2
	v_fma_f16 v2, v41, v2, -v3
	s_delay_alu instid0(VALU_DEP_2)
	v_fmac_f16_e32 v9, v41, v4
	v_mul_f16_e32 v4, v43, v10
	v_fma_f16 v10, v40, v10, -v11
	s_wait_loadcnt 0x3
	v_lshrrev_b32_e32 v3, 16, v6
	v_mul_f16_e32 v11, v42, v6
	v_pack_b32_f16 v2, v9, v2
	v_fmac_f16_e32 v4, v40, v5
	s_wait_loadcnt 0x2
	v_lshrrev_b32_e32 v5, 16, v8
	v_mul_f16_e32 v9, v42, v3
	v_fma_f16 v3, v39, v3, -v11
	v_mul_f16_e32 v11, v37, v8
	s_delay_alu instid0(VALU_DEP_4) | instskip(NEXT) | instid1(VALU_DEP_4)
	v_mul_f16_e32 v13, v37, v5
	v_fmac_f16_e32 v9, v39, v6
	s_delay_alu instid0(VALU_DEP_3)
	v_fma_f16 v5, v35, v5, -v11
	s_wait_loadcnt 0x1
	v_lshrrev_b32_e32 v6, 16, v0
	s_wait_loadcnt 0x0
	v_lshrrev_b32_e32 v14, 16, v1
	v_mul_f16_e32 v11, v34, v0
	v_mul_f16_e32 v16, v32, v1
	v_fmac_f16_e32 v13, v35, v8
	v_mul_f16_e32 v15, v34, v6
	v_mul_f16_e32 v17, v32, v14
	v_fma_f16 v6, v33, v6, -v11
	v_pack_b32_f16 v3, v9, v3
	s_delay_alu instid0(VALU_DEP_4)
	v_fmac_f16_e32 v15, v33, v0
	v_fma_f16 v0, v31, v14, -v16
	v_fmac_f16_e32 v17, v31, v1
	v_pack_b32_f16 v1, v4, v10
	v_pack_b32_f16 v4, v13, v5
	;; [unrolled: 1-line block ×3, first 2 shown]
	v_mul_lo_u16 v6, v7, 6
	v_pack_b32_f16 v0, v17, v0
	ds_store_2addr_b32 v36, v2, v1 offset1:13
	ds_store_2addr_b32 v36, v3, v4 offset0:26 offset1:39
	ds_store_2addr_b32 v36, v5, v0 offset0:52 offset1:65
	global_wb scope:SCOPE_SE
	s_wait_dscnt 0x0
	s_wait_kmcnt 0x0
	s_barrier_signal -1
	s_barrier_wait -1
	global_inv scope:SCOPE_SE
	ds_load_2addr_b32 v[0:1], v36 offset0:26 offset1:39
	ds_load_2addr_b32 v[2:3], v36 offset0:52 offset1:65
	ds_load_2addr_b32 v[4:5], v36 offset1:13
	v_and_b32_e32 v6, 0xffff, v6
	v_add_co_u32 v13, s2, s8, v46
	s_wait_alu 0xf1ff
	v_add_co_ci_u32_e64 v14, null, s9, 0, s2
	s_delay_alu instid0(VALU_DEP_3)
	v_lshl_add_u32 v47, v6, 2, v45
	global_wb scope:SCOPE_SE
	s_wait_dscnt 0x0
	s_barrier_signal -1
	s_barrier_wait -1
	global_inv scope:SCOPE_SE
	v_pk_add_f16 v7, v1, v3
	v_pk_add_f16 v8, v1, v3 neg_lo:[0,1] neg_hi:[0,1]
	v_pk_add_f16 v1, v5, v1
	v_pk_add_f16 v6, v4, v0
	s_delay_alu instid0(VALU_DEP_4) | instskip(NEXT) | instid1(VALU_DEP_3)
	v_pk_fma_f16 v7, v7, 0.5, v5 op_sel_hi:[1,0,1] neg_lo:[1,0,0] neg_hi:[1,0,0]
	v_pk_add_f16 v1, v1, v3
	s_delay_alu instid0(VALU_DEP_2) | instskip(SKIP_4) | instid1(VALU_DEP_4)
	v_pk_fma_f16 v5, 0x3aee, v8, v7 op_sel:[0,0,1] op_sel_hi:[0,1,0]
	v_pk_fma_f16 v7, 0x3aee, v8, v7 op_sel:[0,0,1] op_sel_hi:[0,1,0] neg_lo:[0,1,0] neg_hi:[0,1,0]
	v_pk_add_f16 v8, v0, v2
	v_pk_add_f16 v0, v0, v2 neg_lo:[0,1] neg_hi:[0,1]
	v_pk_add_f16 v2, v6, v2
	v_bfi_b32 v3, 0xffff, v5, v7
	v_lshrrev_b32_e32 v5, 16, v5
	v_pk_fma_f16 v4, v8, 0.5, v4 op_sel_hi:[1,0,1] neg_lo:[1,0,0] neg_hi:[1,0,0]
	v_pk_mul_f16 v0, 0x3aee, v0 op_sel_hi:[0,1]
	v_mul_f16_e32 v10, 0x3aee, v7
	v_pk_mul_f16 v6, v3, 0.5 op_sel_hi:[1,0]
	v_mul_f16_e32 v8, 0xbaee, v5
	v_pk_add_f16 v15, v2, v1
	v_pk_add_f16 v9, v4, v0 op_sel:[0,1] op_sel_hi:[1,0]
	v_pk_add_f16 v0, v4, v0 op_sel:[0,1] op_sel_hi:[1,0] neg_lo:[0,1] neg_hi:[0,1]
	v_pk_fma_f16 v3, 0xbaee3aee, v3, v6 op_sel:[0,0,1] op_sel_hi:[1,1,0] neg_lo:[0,0,1] neg_hi:[0,0,1]
	v_fmac_f16_e32 v8, 0.5, v7
	v_fmac_f16_e32 v10, 0.5, v5
	v_lshrrev_b32_e32 v4, 16, v9
	v_lshrrev_b32_e32 v7, 16, v0
	;; [unrolled: 1-line block ×3, first 2 shown]
	v_pack_b32_f16 v6, v8, v3
	v_bfi_b32 v11, 0xffff, v0, v9
	v_add_f16_e32 v17, v9, v10
	v_sub_f16_e32 v18, v9, v10
	v_add_f16_e32 v65, v4, v5
	v_pk_add_f16 v71, v0, v6 op_sel:[1,0] op_sel_hi:[0,1]
	v_sub_f16_e32 v59, v7, v8
	v_pk_add_f16 v30, v2, v1 neg_lo:[0,1] neg_hi:[0,1]
	v_pk_add_f16 v28, v11, v3 neg_lo:[0,1] neg_hi:[0,1]
	s_delay_alu instid0(VALU_DEP_4)
	v_alignbit_b32 v29, v65, v71, 16
	v_pack_b32_f16 v16, v17, v71
	v_pack_b32_f16 v27, v18, v59
	v_lshrrev_b32_e32 v20, 16, v71
	ds_store_2addr_b64 v47, v[15:16], v[29:30] offset1:1
	ds_store_b64 v47, v[27:28] offset:16
	global_wb scope:SCOPE_SE
	s_wait_dscnt 0x0
	s_barrier_signal -1
	s_barrier_wait -1
	global_inv scope:SCOPE_SE
	s_and_saveexec_b32 s2, vcc_lo
	s_cbranch_execz .LBB0_3
; %bb.2:
	ds_load_2addr_b32 v[16:17], v36 offset1:6
	ds_load_2addr_b32 v[20:21], v36 offset0:12 offset1:18
	ds_load_2addr_b32 v[18:19], v36 offset0:24 offset1:30
	;; [unrolled: 1-line block ×5, first 2 shown]
	ds_load_b32 v77, v36 offset:288
	s_wait_dscnt 0x6
	v_lshrrev_b32_e32 v71, 16, v17
	s_wait_dscnt 0x5
	v_lshrrev_b32_e32 v65, 16, v20
	;; [unrolled: 2-line block ×4, first 2 shown]
	v_lshrrev_b32_e32 v75, 16, v23
	s_wait_dscnt 0x2
	v_lshrrev_b32_e32 v85, 16, v24
	v_lshrrev_b32_e32 v86, 16, v25
	s_wait_dscnt 0x1
	v_lshrrev_b32_e32 v81, 16, v26
	;; [unrolled: 3-line block ×3, first 2 shown]
	v_dual_mov_b32 v15, v16 :: v_dual_mov_b32 v28, v19
	v_mov_b32_e32 v30, v21
.LBB0_3:
	s_wait_alu 0xfffe
	s_or_b32 exec_lo, exec_lo, s2
	v_and_b32_e32 v0, 0xff, v38
	s_delay_alu instid0(VALU_DEP_2) | instskip(SKIP_2) | instid1(VALU_DEP_4)
	v_lshrrev_b32_e32 v16, 16, v30
	v_lshrrev_b32_e32 v19, 16, v28
	;; [unrolled: 1-line block ×3, first 2 shown]
	v_mul_lo_u16 v0, 0xab, v0
	s_delay_alu instid0(VALU_DEP_1) | instskip(NEXT) | instid1(VALU_DEP_1)
	v_lshrrev_b16 v0, 10, v0
	v_mul_lo_u16 v0, v0, 6
	s_delay_alu instid0(VALU_DEP_1) | instskip(NEXT) | instid1(VALU_DEP_1)
	v_sub_nc_u16 v0, v38, v0
	v_mul_lo_u16 v0, v0, 12
	s_delay_alu instid0(VALU_DEP_1) | instskip(NEXT) | instid1(VALU_DEP_1)
	v_and_b32_e32 v0, 0xfc, v0
	v_lshlrev_b32_e32 v8, 2, v0
	s_clause 0x2
	global_load_b128 v[4:7], v8, s[10:11]
	global_load_b128 v[0:3], v8, s[10:11] offset:16
	global_load_b128 v[8:11], v8, s[10:11] offset:32
	s_wait_loadcnt 0x2
	v_lshrrev_b32_e32 v58, 16, v4
	v_lshrrev_b32_e32 v55, 16, v5
	s_wait_loadcnt 0x1
	v_lshrrev_b32_e32 v48, 16, v1
	s_wait_loadcnt 0x0
	v_lshrrev_b32_e32 v57, 16, v11
	v_lshrrev_b32_e32 v53, 16, v6
	;; [unrolled: 1-line block ×8, first 2 shown]
	v_mul_f16_e32 v21, v71, v58
	v_mul_f16_e32 v74, v17, v58
	;; [unrolled: 1-line block ×6, first 2 shown]
	v_lshrrev_b32_e32 v49, 16, v0
	v_mul_f16_e32 v73, v20, v55
	v_mul_f16_e32 v79, v16, v53
	;; [unrolled: 1-line block ×15, first 2 shown]
	v_fma_f16 v84, v17, v4, -v21
	v_fmac_f16_e32 v74, v71, v4
	v_fma_f16 v83, v20, v5, -v78
	v_fma_f16 v78, v22, v1, -v90
	;; [unrolled: 1-line block ×3, first 2 shown]
	v_fmac_f16_e32 v61, v88, v11
	v_mul_f16_e32 v89, v19, v49
	v_mul_f16_e32 v69, v28, v49
	;; [unrolled: 1-line block ×3, first 2 shown]
	v_fmac_f16_e32 v73, v65, v5
	v_fma_f16 v82, v30, v6, -v79
	v_fmac_f16_e32 v72, v16, v6
	v_fma_f16 v80, v18, v7, -v80
	v_fmac_f16_e32 v70, v59, v7
	v_fmac_f16_e32 v68, v76, v1
	v_fma_f16 v76, v23, v2, -v91
	v_fmac_f16_e32 v67, v75, v2
	v_fma_f16 v75, v24, v3, -v92
	v_fma_f16 v25, v25, v8, -v93
	v_fmac_f16_e32 v64, v86, v8
	v_fma_f16 v24, v26, v9, -v94
	v_fma_f16 v23, v27, v10, -v95
	v_fmac_f16_e32 v62, v87, v10
	v_fmac_f16_e32 v63, v81, v9
	v_sub_f16_e32 v16, v74, v61
	v_sub_f16_e32 v27, v84, v22
	v_fma_f16 v79, v28, v0, -v89
	v_fmac_f16_e32 v69, v19, v0
	v_fmac_f16_e32 v66, v85, v3
	v_add_f16_e32 v122, v84, v22
	v_sub_f16_e32 v17, v73, v62
	v_sub_f16_e32 v18, v72, v63
	;; [unrolled: 1-line block ×4, first 2 shown]
	v_add_f16_e32 v126, v74, v61
	v_sub_f16_e32 v28, v83, v23
	v_sub_f16_e32 v30, v82, v24
	;; [unrolled: 1-line block ×4, first 2 shown]
	v_mul_f16_e32 v103, 0xba95, v16
	v_mul_f16_e32 v114, 0xbbf1, v16
	;; [unrolled: 1-line block ×3, first 2 shown]
	v_mul_f16_e64 v143, 0xb94e, v16
	v_mul_f16_e32 v77, 0xb3a8, v16
	v_mul_f16_e32 v90, 0xb770, v16
	;; [unrolled: 1-line block ×4, first 2 shown]
	v_mul_f16_e64 v135, 0xbbf1, v27
	v_mul_f16_e64 v149, 0xbb7b, v27
	;; [unrolled: 1-line block ×3, first 2 shown]
	v_mul_f16_e32 v16, 0xb3a8, v27
	v_add_f16_e32 v117, v83, v23
	v_sub_f16_e32 v20, v69, v66
	v_add_f16_e32 v123, v73, v62
	v_sub_f16_e32 v65, v79, v75
	v_add_f16_e64 v140, v68, v67
	v_mul_f16_e32 v102, 0xbb7b, v17
	v_mul_f16_e32 v112, 0xb3a8, v17
	v_mul_f16_e32 v125, 0x394e, v17
	v_mul_f16_e64 v142, 0x3bf1, v17
	v_mul_f16_e32 v101, 0xb3a8, v18
	v_mul_f16_e32 v110, 0x3b7b, v18
	v_mul_f16_e32 v124, 0x3770, v18
	v_mul_f16_e64 v139, 0xba95, v18
	;; [unrolled: 4-line block ×4, first 2 shown]
	v_mul_f16_e32 v81, 0x3770, v17
	v_mul_f16_e64 v156, 0xb94e, v18
	v_mul_f16_e64 v157, 0x3a95, v19
	;; [unrolled: 1-line block ×3, first 2 shown]
	v_mul_f16_e32 v87, 0xba95, v17
	v_mul_f16_e32 v89, 0xba95, v28
	v_mul_f16_e32 v118, 0xbb7b, v28
	v_mul_f16_e64 v131, 0xb3a8, v28
	v_mul_f16_e64 v146, 0x394e, v28
	v_mul_f16_e64 v154, 0x3bf1, v28
	v_mul_f16_e32 v17, 0x3770, v28
	v_mul_f16_e32 v91, 0xbbf1, v18
	v_mul_f16_e32 v98, 0xbbf1, v30
	v_mul_f16_e32 v115, 0xb3a8, v30
	v_mul_f16_e64 v133, 0x3b7b, v30
	v_mul_f16_e64 v147, 0x3770, v30
	v_mul_f16_e64 v151, 0xba95, v30
	v_mul_f16_e32 v18, 0xb94e, v30
	;; [unrolled: 7-line block ×3, first 2 shown]
	v_mul_f16_e32 v94, 0xb3a8, v21
	v_mul_f16_e32 v21, 0x3bf1, v71
	v_fmamk_f16 v27, v122, 0x388b, v103
	v_fmamk_f16 v28, v122, 0x2fb7, v114
	;; [unrolled: 1-line block ×3, first 2 shown]
	v_fma_f16 v59, 0xb9fd, v122, v143
	v_fma_f16 v178, v122, 0xbbc4, -v77
	v_fmac_f16_e32 v77, 0xbbc4, v122
	v_fma_f16 v184, 0x3b15, v122, v90
	v_fma_f16 v186, v126, 0x3b15, -v96
	v_fma_f16 v188, v126, 0x388b, -v121
	;; [unrolled: 1-line block ×5, first 2 shown]
	v_fma_f16 v196, 0xbbc4, v126, v16
	v_fma_f16 v16, v126, 0xbbc4, -v16
	v_add_f16_e32 v111, v82, v24
	v_add_f16_e64 v132, v72, v63
	v_mul_f16_e32 v86, 0x3bf1, v20
	v_mul_f16_e32 v106, 0xba95, v20
	;; [unrolled: 1-line block ×3, first 2 shown]
	v_mul_f16_e64 v137, 0x3770, v20
	v_mul_f16_e64 v158, 0xbb7b, v20
	v_mul_f16_e32 v92, 0xb94e, v20
	v_mul_f16_e32 v99, 0xb94e, v65
	;; [unrolled: 1-line block ×3, first 2 shown]
	v_mul_f16_e64 v130, 0xba95, v65
	v_mul_f16_e64 v144, 0x33a8, v65
	;; [unrolled: 1-line block ×3, first 2 shown]
	v_mul_f16_e32 v20, 0xbb7b, v65
	v_mul_f16_e32 v100, 0xb3a8, v71
	;; [unrolled: 1-line block ×3, first 2 shown]
	v_mul_f16_e64 v128, 0xb94e, v71
	v_mul_f16_e64 v145, 0x3a95, v71
	;; [unrolled: 1-line block ×3, first 2 shown]
	v_fmamk_f16 v65, v117, 0xb5ac, v102
	v_fmamk_f16 v71, v117, 0xbbc4, v112
	v_fma_f16 v160, 0xb9fd, v117, v125
	v_fma_f16 v161, 0x2fb7, v117, v142
	v_fma_f16 v179, v117, 0x3b15, -v81
	v_fmac_f16_e32 v81, 0x3b15, v117
	v_fma_f16 v185, 0x388b, v117, v87
	v_fma_f16 v187, v123, 0x388b, -v89
	v_fma_f16 v189, v123, 0xb5ac, -v118
	;; [unrolled: 1-line block ×5, first 2 shown]
	v_fma_f16 v197, 0x3b15, v123, v17
	v_fma_f16 v17, v123, 0x3b15, -v17
	v_fma_f16 v225, 0x2fb7, v140, v21
	v_fma_f16 v226, v140, 0x2fb7, -v21
	v_add_f16_e32 v21, v15, v27
	v_add_f16_e32 v27, v15, v28
	;; [unrolled: 1-line block ×4, first 2 shown]
	v_add_f16_e64 v59, v15, v178
	v_add_f16_e32 v77, v15, v77
	v_add_f16_e64 v178, v15, v184
	v_add_f16_e64 v184, v60, v186
	;; [unrolled: 1-line block ×7, first 2 shown]
	v_add_f16_e32 v16, v60, v16
	v_add_f16_e32 v109, v80, v25
	v_add_f16_e64 v138, v70, v64
	v_fma_f16 v162, 0xbbc4, v111, v101
	v_fma_f16 v163, 0xb5ac, v111, v110
	;; [unrolled: 1-line block ×4, first 2 shown]
	v_fma_f16 v180, v111, 0xb9fd, -v156
	v_fmac_f16_e64 v156, 0xb9fd, v111
	v_fma_f16 v198, 0x2fb7, v111, v91
	v_fma_f16 v199, v132, 0x2fb7, -v98
	v_fma_f16 v200, v132, 0xbbc4, -v115
	;; [unrolled: 1-line block ×5, first 2 shown]
	v_fma_f16 v204, 0xb9fd, v132, v18
	v_fma_f16 v18, v132, 0xb9fd, -v18
	v_add_f16_e32 v21, v65, v21
	v_add_f16_e32 v27, v71, v27
	v_add_f16_e64 v28, v160, v28
	v_add_f16_e64 v30, v161, v30
	;; [unrolled: 1-line block ×3, first 2 shown]
	v_add_f16_e32 v65, v81, v77
	v_add_f16_e64 v71, v185, v178
	v_add_f16_e64 v77, v187, v184
	;; [unrolled: 1-line block ×7, first 2 shown]
	v_add_f16_e32 v16, v17, v16
	v_add_f16_e32 v107, v79, v75
	v_add_f16_e64 v141, v69, v66
	v_fma_f16 v165, 0xb9fd, v109, v88
	v_fma_f16 v166, 0x3b15, v109, v108
	;; [unrolled: 1-line block ×4, first 2 shown]
	v_fma_f16 v181, v109, 0x388b, -v157
	v_fmac_f16_e64 v157, 0x388b, v109
	v_fma_f16 v205, 0xb5ac, v109, v93
	v_fma_f16 v206, v138, 0xb5ac, -v97
	v_fma_f16 v207, v138, 0xb9fd, -v116
	;; [unrolled: 1-line block ×5, first 2 shown]
	v_fma_f16 v211, 0x388b, v138, v19
	v_fma_f16 v19, v138, 0x388b, -v19
	v_add_f16_e64 v17, v162, v21
	v_add_f16_e64 v21, v163, v27
	;; [unrolled: 1-line block ×13, first 2 shown]
	v_add_f16_e32 v16, v18, v16
	v_add_f16_e32 v95, v78, v76
	v_fma_f16 v168, 0x2fb7, v107, v86
	v_fma_f16 v169, 0x388b, v107, v106
	;; [unrolled: 1-line block ×4, first 2 shown]
	v_fma_f16 v182, v107, 0xb5ac, -v158
	v_fmac_f16_e64 v158, 0xb5ac, v107
	v_fma_f16 v212, 0xb9fd, v107, v92
	v_fma_f16 v213, v141, 0xb9fd, -v99
	v_fma_f16 v214, v141, 0x2fb7, -v104
	;; [unrolled: 1-line block ×5, first 2 shown]
	v_fma_f16 v218, 0xb5ac, v141, v20
	v_fma_f16 v20, v141, 0xb5ac, -v20
	v_add_f16_e64 v17, v165, v17
	v_add_f16_e64 v18, v166, v21
	;; [unrolled: 1-line block ×13, first 2 shown]
	v_add_f16_e32 v16, v19, v16
	v_fma_f16 v170, 0x3b15, v95, v85
	v_fma_f16 v171, 0xb9fd, v95, v26
	;; [unrolled: 1-line block ×4, first 2 shown]
	v_fma_f16 v183, v95, 0x2fb7, -v159
	v_fmac_f16_e64 v159, 0x2fb7, v95
	v_fma_f16 v219, 0xbbc4, v95, v94
	v_fma_f16 v220, v140, 0xbbc4, -v100
	v_fma_f16 v221, v140, 0x3b15, -v105
	;; [unrolled: 1-line block ×5, first 2 shown]
	v_add_f16_e64 v17, v168, v17
	v_add_f16_e64 v18, v169, v18
	;; [unrolled: 1-line block ×28, first 2 shown]
	s_and_saveexec_b32 s2, vcc_lo
	s_cbranch_execz .LBB0_5
; %bb.4:
	v_mul_f16_e64 v157, 0x3b15, v126
	v_mul_f16_e64 v159, 0x388b, v126
	;; [unrolled: 1-line block ×4, first 2 shown]
	v_mul_f16_e32 v126, 0xb9fd, v126
	v_mul_f16_e64 v165, 0x388b, v123
	v_mul_f16_e64 v167, 0xb5ac, v123
	;; [unrolled: 1-line block ×4, first 2 shown]
	v_mul_f16_e32 v123, 0x2fb7, v123
	v_add_f16_e64 v126, v155, v126
	v_mul_f16_e64 v156, 0x3b15, v122
	v_mul_f16_e64 v158, 0x388b, v122
	;; [unrolled: 1-line block ×4, first 2 shown]
	v_mul_f16_e32 v122, 0xb9fd, v122
	v_mul_f16_e64 v173, 0x2fb7, v132
	v_mul_f16_e64 v175, 0xbbc4, v132
	;; [unrolled: 1-line block ×5, first 2 shown]
	v_add_f16_e32 v126, v60, v126
	v_add_f16_e64 v123, v154, v123
	v_mul_f16_e64 v164, 0x388b, v117
	v_mul_f16_e64 v166, 0xb5ac, v117
	v_mul_f16_e64 v168, 0xbbc4, v117
	v_mul_f16_e64 v170, 0xb9fd, v117
	v_mul_f16_e32 v117, 0x2fb7, v117
	v_mul_f16_e64 v181, 0xb5ac, v138
	v_mul_f16_e64 v183, 0xb9fd, v138
	;; [unrolled: 1-line block ×5, first 2 shown]
	v_sub_f16_e64 v122, v122, v143
	v_add_f16_e32 v123, v123, v126
	v_add_f16_e64 v126, v151, v132
	v_sub_f16_e64 v103, v158, v103
	v_add_f16_e32 v84, v15, v84
	v_add_f16_e32 v74, v60, v74
	v_mul_f16_e64 v172, 0x2fb7, v111
	v_mul_f16_e64 v174, 0xbbc4, v111
	;; [unrolled: 1-line block ×4, first 2 shown]
	v_mul_f16_e32 v111, 0x388b, v111
	v_mul_f16_e64 v189, 0xb9fd, v141
	v_mul_f16_e64 v191, 0x2fb7, v141
	;; [unrolled: 1-line block ×9, first 2 shown]
	v_add_f16_e32 v122, v15, v122
	v_sub_f16_e64 v117, v117, v142
	v_add_f16_e32 v123, v126, v123
	v_add_f16_e64 v126, v152, v138
	v_mul_f16_e64 v138, 0xb5ac, v140
	v_add_f16_e64 v140, v149, v163
	v_add_f16_e32 v103, v15, v103
	v_sub_f16_e64 v102, v166, v102
	v_add_f16_e32 v83, v84, v83
	v_add_f16_e32 v73, v74, v73
	v_mul_f16_e64 v180, 0xb5ac, v109
	v_mul_f16_e64 v182, 0xb9fd, v109
	;; [unrolled: 1-line block ×4, first 2 shown]
	v_mul_f16_e32 v109, 0xbbc4, v109
	v_add_f16_e32 v117, v117, v122
	v_sub_f16_e64 v111, v111, v139
	v_add_f16_e32 v122, v126, v123
	v_add_f16_e64 v123, v150, v141
	v_add_f16_e64 v126, v60, v140
	;; [unrolled: 1-line block ×3, first 2 shown]
	v_sub_f16_e64 v114, v160, v114
	v_add_f16_e32 v102, v102, v103
	v_sub_f16_e64 v101, v174, v101
	v_add_f16_e32 v82, v83, v82
	v_add_f16_e32 v72, v73, v72
	v_mul_f16_e64 v188, 0xb9fd, v107
	v_mul_f16_e64 v190, 0x2fb7, v107
	;; [unrolled: 1-line block ×4, first 2 shown]
	v_mul_f16_e32 v107, 0x3b15, v107
	v_add_f16_e32 v111, v111, v117
	v_sub_f16_e64 v109, v109, v136
	v_add_f16_e32 v117, v123, v122
	v_add_f16_e64 v122, v153, v138
	v_add_f16_e64 v123, v139, v126
	;; [unrolled: 1-line block ×3, first 2 shown]
	v_add_f16_e32 v114, v15, v114
	v_sub_f16_e64 v112, v168, v112
	v_add_f16_e32 v101, v101, v102
	v_sub_f16_e64 v74, v182, v88
	v_add_f16_e32 v80, v82, v80
	v_add_f16_e32 v70, v72, v70
	;; [unrolled: 1-line block ×3, first 2 shown]
	v_sub_f16_e64 v107, v107, v137
	v_add_f16_e32 v111, v122, v117
	v_add_f16_e32 v117, v126, v123
	v_add_f16_e64 v123, v135, v161
	v_add_f16_e32 v112, v112, v114
	v_sub_f16_e64 v110, v176, v110
	v_add_f16_e64 v114, v121, v159
	v_add_f16_e32 v73, v74, v101
	v_sub_f16_e64 v74, v190, v86
	v_add_f16_e64 v72, v96, v157
	v_add_f16_e32 v79, v80, v79
	v_add_f16_e32 v69, v70, v69
	v_add_f16_e32 v107, v107, v109
	v_sub_f16_e64 v109, v162, v127
	v_add_f16_e32 v123, v60, v123
	v_add_f16_e32 v110, v110, v112
	;; [unrolled: 1-line block ×4, first 2 shown]
	v_sub_f16_e64 v74, v156, v90
	v_add_f16_e32 v60, v60, v72
	v_add_f16_e32 v72, v79, v78
	;; [unrolled: 1-line block ×3, first 2 shown]
	v_add_f16_e64 v122, v148, v187
	v_add_f16_e32 v109, v15, v109
	v_sub_f16_e64 v108, v184, v108
	v_add_f16_e64 v114, v118, v167
	v_add_f16_e64 v70, v89, v165
	v_add_f16_e32 v15, v15, v74
	v_sub_f16_e64 v69, v164, v87
	v_add_f16_e32 v72, v72, v76
	v_add_f16_e32 v67, v68, v67
	;; [unrolled: 1-line block ×3, first 2 shown]
	v_add_f16_e64 v122, v144, v195
	v_sub_f16_e64 v125, v170, v125
	v_add_f16_e64 v126, v131, v169
	v_add_f16_e32 v108, v108, v110
	v_sub_f16_e64 v106, v192, v106
	v_add_f16_e32 v110, v114, v112
	v_add_f16_e64 v112, v115, v175
	v_add_f16_e32 v60, v70, v60
	v_add_f16_e64 v70, v98, v173
	v_add_f16_e32 v15, v69, v15
	v_sub_f16_e64 v68, v172, v91
	v_add_f16_e32 v69, v72, v75
	v_add_f16_e32 v66, v67, v66
	;; [unrolled: 1-line block ×3, first 2 shown]
	v_add_f16_e64 v122, v145, v143
	v_add_f16_e32 v109, v125, v109
	v_sub_f16_e64 v124, v178, v124
	v_add_f16_e32 v123, v126, v123
	v_add_f16_e64 v125, v133, v177
	v_add_f16_e32 v106, v106, v108
	v_add_f16_e32 v108, v112, v110
	v_add_f16_e64 v110, v116, v183
	v_add_f16_e32 v60, v70, v60
	v_add_f16_e64 v67, v97, v181
	v_add_f16_e32 v15, v68, v15
	v_sub_f16_e64 v68, v180, v93
	v_add_f16_e32 v25, v69, v25
	v_add_f16_e32 v64, v66, v64
	v_mul_f16_e64 v155, 0xbbc4, v95
	v_mul_f16_e64 v197, 0x3b15, v95
	v_add_f16_e32 v117, v122, v117
	v_add_f16_e32 v109, v124, v109
	v_sub_f16_e64 v120, v186, v120
	v_add_f16_e32 v122, v125, v123
	v_add_f16_e64 v123, v129, v185
	v_add_f16_e32 v103, v110, v108
	v_add_f16_e64 v104, v104, v191
	;; [unrolled: 2-line block ×3, first 2 shown]
	v_add_f16_e32 v15, v68, v15
	v_add_f16_e32 v24, v25, v24
	;; [unrolled: 1-line block ×3, first 2 shown]
	v_sub_f16_e64 v63, v188, v92
	v_mul_f16_e64 v198, 0xb9fd, v95
	v_mul_f16_e64 v132, 0x388b, v95
	v_add_f16_e32 v109, v120, v109
	v_sub_f16_e64 v119, v194, v119
	v_add_f16_e32 v120, v123, v122
	v_add_f16_e64 v122, v130, v193
	v_add_f16_e32 v84, v104, v103
	v_add_f16_e64 v88, v105, v154
	;; [unrolled: 2-line block ×3, first 2 shown]
	v_add_f16_e32 v23, v24, v23
	v_add_f16_e32 v24, v25, v62
	;; [unrolled: 1-line block ×3, first 2 shown]
	v_sub_f16_e64 v25, v155, v94
	v_sub_f16_e64 v62, v197, v85
	v_mul_f16_e32 v95, 0xb5ac, v95
	v_add_f16_e32 v109, v119, v109
	v_sub_f16_e64 v113, v132, v113
	v_add_f16_e32 v119, v122, v120
	v_add_f16_e64 v118, v128, v199
	v_add_f16_e32 v83, v88, v84
	v_add_f16_e32 v22, v23, v22
	;; [unrolled: 1-line block ×6, first 2 shown]
	v_sub_f16_e64 v26, v198, v26
	v_sub_f16_e64 v95, v95, v134
	v_add_f16_e32 v114, v118, v119
	v_pack_b32_f16 v22, v22, v23
	v_pack_b32_f16 v15, v15, v24
	v_pack_b32_f16 v24, v25, v83
	v_add_f16_e32 v25, v26, v106
	v_add_f16_e32 v26, v113, v109
	v_lshl_add_u32 v23, v38, 2, v45
	v_add_f16_e32 v60, v95, v107
	ds_store_b32 v36, v22
	ds_store_2addr_b32 v23, v15, v24 offset0:6 offset1:12
	v_pack_b32_f16 v15, v25, v114
	v_pack_b32_f16 v22, v26, v117
	;; [unrolled: 1-line block ×3, first 2 shown]
	v_perm_b32 v25, v28, v16, 0x5040100
	v_perm_b32 v26, v27, v17, 0x5040100
	;; [unrolled: 1-line block ×7, first 2 shown]
	ds_store_2addr_b32 v23, v15, v22 offset0:18 offset1:24
	ds_store_2addr_b32 v23, v24, v25 offset0:30 offset1:36
	;; [unrolled: 1-line block ×5, first 2 shown]
.LBB0_5:
	s_wait_alu 0xfffe
	s_or_b32 exec_lo, exec_lo, s2
	global_wb scope:SCOPE_SE
	s_wait_dscnt 0x0
	s_barrier_signal -1
	s_barrier_wait -1
	global_inv scope:SCOPE_SE
	global_load_b32 v15, v[13:14], off offset:312
	s_add_nc_u64 s[2:3], s[8:9], 0x138
	s_clause 0x4
	global_load_b32 v26, v46, s[2:3] offset:52
	global_load_b32 v60, v46, s[2:3] offset:104
	;; [unrolled: 1-line block ×5, first 2 shown]
	ds_load_2addr_b32 v[13:14], v36 offset1:13
	s_wait_dscnt 0x0
	v_lshrrev_b32_e32 v22, 16, v13
	s_wait_loadcnt 0x3
	v_lshrrev_b32_e32 v63, 16, v60
	v_lshrrev_b32_e32 v23, 16, v15
	s_wait_loadcnt 0x2
	v_lshrrev_b32_e32 v66, 16, v61
	s_wait_loadcnt 0x1
	;; [unrolled: 2-line block ×3, first 2 shown]
	v_lshrrev_b32_e32 v68, 16, v46
	v_mul_f16_e32 v24, v22, v23
	v_mul_f16_e32 v23, v13, v23
	s_delay_alu instid0(VALU_DEP_2) | instskip(NEXT) | instid1(VALU_DEP_2)
	v_fma_f16 v13, v13, v15, -v24
	v_fmac_f16_e32 v23, v22, v15
	v_lshrrev_b32_e32 v15, 16, v26
	s_delay_alu instid0(VALU_DEP_2) | instskip(SKIP_4) | instid1(VALU_DEP_1)
	v_pack_b32_f16 v13, v13, v23
	ds_store_b32 v36, v13
	ds_load_2addr_b32 v[22:23], v36 offset0:26 offset1:39
	ds_load_2addr_b32 v[24:25], v36 offset0:52 offset1:65
	v_lshrrev_b32_e32 v13, 16, v14
	v_mul_f16_e32 v64, v13, v15
	v_mul_f16_e32 v15, v14, v15
	s_delay_alu instid0(VALU_DEP_2) | instskip(NEXT) | instid1(VALU_DEP_2)
	v_fma_f16 v14, v14, v26, -v64
	v_fmac_f16_e32 v15, v13, v26
	s_delay_alu instid0(VALU_DEP_1)
	v_pack_b32_f16 v14, v14, v15
	s_wait_dscnt 0x1
	v_lshrrev_b32_e32 v13, 16, v22
	v_mul_f16_e32 v26, v22, v63
	v_lshrrev_b32_e32 v64, 16, v23
	v_mul_f16_e32 v69, v23, v66
	s_wait_dscnt 0x0
	v_lshrrev_b32_e32 v70, 16, v24
	v_lshrrev_b32_e32 v73, 16, v25
	v_mul_f16_e32 v63, v13, v63
	v_mul_f16_e32 v72, v24, v67
	v_fmac_f16_e32 v26, v13, v60
	v_mul_f16_e32 v13, v64, v66
	v_fmac_f16_e32 v69, v64, v61
	v_mul_f16_e32 v64, v70, v67
	v_mul_f16_e32 v74, v25, v68
	;; [unrolled: 1-line block ×3, first 2 shown]
	v_fma_f16 v22, v22, v60, -v63
	v_fmac_f16_e32 v72, v70, v62
	v_fma_f16 v13, v23, v61, -v13
	v_fma_f16 v23, v24, v62, -v64
	v_fmac_f16_e32 v74, v73, v46
	v_fma_f16 v24, v25, v46, -v66
	v_pack_b32_f16 v15, v22, v26
	v_pack_b32_f16 v13, v13, v69
	;; [unrolled: 1-line block ×3, first 2 shown]
	s_delay_alu instid0(VALU_DEP_4)
	v_pack_b32_f16 v23, v24, v74
	ds_store_2addr_b32 v36, v14, v15 offset0:13 offset1:26
	ds_store_2addr_b32 v36, v13, v22 offset0:39 offset1:52
	ds_store_b32 v36, v23 offset:260
	global_wb scope:SCOPE_SE
	s_wait_dscnt 0x0
	s_barrier_signal -1
	s_barrier_wait -1
	global_inv scope:SCOPE_SE
	ds_load_2addr_b32 v[13:14], v36 offset1:13
	ds_load_2addr_b32 v[22:23], v36 offset0:26 offset1:39
	ds_load_2addr_b32 v[24:25], v36 offset0:52 offset1:65
	global_wb scope:SCOPE_SE
	s_wait_dscnt 0x0
	s_barrier_signal -1
	s_barrier_wait -1
	global_inv scope:SCOPE_SE
	v_pk_add_f16 v15, v13, v22
	v_pk_add_f16 v26, v23, v25
	;; [unrolled: 1-line block ×4, first 2 shown]
	v_pk_add_f16 v23, v23, v25 neg_lo:[0,1] neg_hi:[0,1]
	v_pk_add_f16 v61, v15, v24
	v_pk_fma_f16 v14, v26, 0.5, v14 op_sel_hi:[1,0,1] neg_lo:[1,0,0] neg_hi:[1,0,0]
	v_pk_add_f16 v15, v22, v24 neg_lo:[0,1] neg_hi:[0,1]
	v_pk_fma_f16 v22, v60, 0.5, v13 op_sel_hi:[1,0,1] neg_lo:[1,0,0] neg_hi:[1,0,0]
	v_pk_add_f16 v25, v46, v25
	s_delay_alu instid0(VALU_DEP_4) | instskip(SKIP_1) | instid1(VALU_DEP_4)
	v_pk_fma_f16 v24, 0x3aee, v23, v14 op_sel:[0,0,1] op_sel_hi:[0,1,0] neg_lo:[0,1,0] neg_hi:[0,1,0]
	v_pk_fma_f16 v14, 0x3aee, v23, v14 op_sel:[0,0,1] op_sel_hi:[0,1,0]
	v_pk_fma_f16 v23, 0x3aee, v15, v22 op_sel:[0,0,1] op_sel_hi:[0,1,0] neg_lo:[0,1,0] neg_hi:[0,1,0]
	v_pk_fma_f16 v15, 0x3aee, v15, v22 op_sel:[0,0,1] op_sel_hi:[0,1,0]
	v_pk_add_f16 v13, v61, v25
	v_pk_mul_f16 v22, 0x3aee, v24 op_sel_hi:[0,1]
	v_lshrrev_b32_e32 v26, 16, v24
	v_lshrrev_b32_e32 v46, 16, v14
	v_mul_f16_e32 v24, -0.5, v24
	v_mul_f16_e32 v60, 0x3aee, v14
	v_pk_fma_f16 v62, 0xb8003800, v14, v22 op_sel:[0,0,1] op_sel_hi:[1,1,0]
	v_pk_fma_f16 v14, 0xb8003800, v14, v22 op_sel:[0,0,1] op_sel_hi:[1,1,0] neg_lo:[0,0,1] neg_hi:[0,0,1]
	v_lshrrev_b32_e32 v22, 16, v23
	v_fmac_f16_e32 v24, 0x3aee, v46
	v_fma_f16 v26, v26, 0.5, -v60
	v_alignbit_b32 v60, v15, v23, 16
	v_bfi_b32 v63, 0xffff, v62, v14
	v_alignbit_b32 v64, v23, v15, 16
	v_add_f16_e32 v46, v23, v24
	v_pack_b32_f16 v23, v26, v62
	v_alignbit_b32 v14, v24, v14, 16
	v_pk_add_f16 v62, v15, v63
	v_add_f16_e32 v15, v22, v26
	v_pk_add_f16 v26, v61, v25 neg_lo:[0,1] neg_hi:[0,1]
	v_pk_add_f16 v22, v60, v23 neg_lo:[0,1] neg_hi:[0,1]
	;; [unrolled: 1-line block ×3, first 2 shown]
	v_alignbit_b32 v25, v46, v62, 16
	v_pack_b32_f16 v14, v15, v62
	v_lshrrev_b32_e32 v24, 16, v62
	v_lshrrev_b32_e32 v61, 16, v22
	;; [unrolled: 1-line block ×3, first 2 shown]
	ds_store_2addr_b64 v47, v[13:14], v[25:26] offset1:1
	ds_store_b64 v47, v[22:23] offset:16
	global_wb scope:SCOPE_SE
	s_wait_dscnt 0x0
	s_barrier_signal -1
	s_barrier_wait -1
	global_inv scope:SCOPE_SE
	s_and_saveexec_b32 s2, vcc_lo
	s_cbranch_execz .LBB0_7
; %bb.6:
	ds_load_2addr_b32 v[14:15], v36 offset1:6
	ds_load_2addr_b32 v[24:25], v36 offset0:12 offset1:18
	ds_load_2addr_b32 v[22:23], v36 offset0:24 offset1:30
	;; [unrolled: 1-line block ×5, first 2 shown]
	ds_load_b32 v71, v36 offset:288
	s_wait_dscnt 0x6
	v_lshrrev_b32_e32 v62, 16, v15
	s_wait_dscnt 0x5
	v_lshrrev_b32_e32 v46, 16, v24
	;; [unrolled: 2-line block ×3, first 2 shown]
	v_lshrrev_b32_e32 v60, 16, v23
	s_wait_dscnt 0x3
	v_lshrrev_b32_e32 v28, 16, v16
	v_lshrrev_b32_e32 v27, 16, v17
	s_wait_dscnt 0x2
	v_lshrrev_b32_e32 v30, 16, v18
	;; [unrolled: 3-line block ×4, first 2 shown]
	v_dual_mov_b32 v13, v14 :: v_dual_mov_b32 v26, v25
.LBB0_7:
	s_wait_alu 0xfffe
	s_or_b32 exec_lo, exec_lo, s2
	s_and_saveexec_b32 s2, vcc_lo
	s_cbranch_execz .LBB0_9
; %bb.8:
	v_mul_f16_e32 v14, v57, v71
	v_mul_f16_e32 v47, v58, v15
	;; [unrolled: 1-line block ×5, first 2 shown]
	v_fma_f16 v25, v11, v81, -v14
	v_fma_f16 v62, v4, v62, -v47
	v_mul_f16_e32 v14, v55, v24
	v_mul_f16_e32 v47, v57, v81
	;; [unrolled: 1-line block ×3, first 2 shown]
	v_fma_f16 v57, v10, v77, -v63
	v_add_f16_e32 v63, v25, v62
	v_fma_f16 v64, v5, v46, -v14
	v_fmac_f16_e32 v58, v4, v15
	v_fmac_f16_e32 v47, v11, v71
	;; [unrolled: 1-line block ×3, first 2 shown]
	v_mul_f16_e32 v46, 0xbbc4, v63
	v_add_f16_e32 v66, v57, v64
	v_fmac_f16_e32 v56, v10, v21
	v_sub_f16_e32 v10, v58, v47
	v_lshrrev_b32_e32 v4, 16, v13
	v_mul_f16_e32 v15, v54, v20
	v_mul_f16_e32 v21, 0x3b15, v66
	v_sub_f16_e32 v5, v55, v56
	v_fmamk_f16 v11, v10, 0x33a8, v46
	v_lshrrev_b32_e32 v24, 16, v26
	v_mul_f16_e32 v67, v53, v26
	v_fma_f16 v68, v9, v65, -v15
	v_fmamk_f16 v14, v5, 0xb770, v21
	v_add_f16_e32 v11, v4, v11
	v_mul_f16_e32 v15, v51, v22
	v_fma_f16 v67, v6, v24, -v67
	v_mul_f16_e32 v24, v53, v24
	v_mul_f16_e32 v53, v54, v65
	v_add_f16_e32 v11, v14, v11
	v_mul_f16_e32 v14, v52, v19
	v_mul_f16_e32 v52, v52, v59
	v_add_f16_e32 v54, v68, v67
	v_fmac_f16_e32 v24, v6, v26
	v_fmac_f16_e32 v53, v9, v20
	v_fma_f16 v20, v8, v59, -v14
	v_fma_f16 v26, v7, v61, -v15
	v_mul_f16_e32 v51, v51, v61
	v_fmac_f16_e32 v52, v8, v19
	v_mul_f16_e32 v8, v50, v18
	v_mul_f16_e32 v59, 0xb9fd, v54
	v_sub_f16_e32 v6, v24, v53
	v_add_f16_e32 v61, v20, v26
	v_fmac_f16_e32 v51, v7, v22
	v_mul_f16_e32 v9, v49, v23
	v_fma_f16 v22, v3, v30, -v8
	v_mul_f16_e32 v30, v50, v30
	v_fmamk_f16 v14, v6, 0x394e, v59
	v_mul_f16_e32 v19, 0x388b, v61
	v_sub_f16_e32 v7, v51, v52
	v_fma_f16 v65, v0, v60, -v9
	v_mul_f16_e32 v49, v49, v60
	v_fmac_f16_e32 v30, v3, v18
	v_mul_f16_e32 v3, v29, v17
	v_sub_f16_e32 v60, v62, v25
	v_add_f16_e32 v8, v14, v11
	v_fmamk_f16 v9, v7, 0xba95, v19
	v_mul_f16_e32 v11, v48, v16
	v_fma_f16 v69, v2, v27, -v3
	v_add_f16_e32 v3, v47, v58
	v_mul_f16_e32 v71, 0xb3a8, v60
	v_sub_f16_e32 v72, v64, v57
	v_fma_f16 v70, v1, v28, -v11
	v_add_f16_e32 v15, v9, v8
	v_add_f16_e32 v8, v56, v55
	v_fmamk_f16 v9, v3, 0xbbc4, v71
	v_mul_f16_e32 v74, 0x3770, v72
	v_mul_f16_e32 v28, v48, v28
	v_sub_f16_e32 v48, v67, v68
	v_add_f16_e32 v50, v22, v65
	v_fmac_f16_e32 v49, v0, v23
	v_mul_f16_e32 v27, v29, v27
	v_add_f16_e32 v11, v13, v9
	v_fmamk_f16 v14, v8, 0x3b15, v74
	v_add_f16_e32 v9, v53, v24
	v_mul_f16_e32 v29, 0xb94e, v48
	v_sub_f16_e32 v75, v26, v20
	v_mul_f16_e32 v23, 0xb5ac, v50
	v_sub_f16_e32 v0, v49, v30
	v_add_f16_e32 v73, v69, v70
	v_fmac_f16_e32 v28, v1, v16
	v_fmac_f16_e32 v27, v2, v17
	v_add_f16_e32 v2, v14, v11
	v_fmamk_f16 v14, v9, 0xb9fd, v29
	v_add_f16_e32 v11, v52, v51
	v_mul_f16_e32 v76, 0x3a95, v75
	v_sub_f16_e32 v78, v65, v22
	v_fmamk_f16 v18, v0, 0x3b7b, v23
	v_mul_f16_e32 v77, 0x2fb7, v73
	v_sub_f16_e32 v1, v28, v27
	v_add_f16_e32 v2, v14, v2
	v_fmamk_f16 v16, v11, 0x388b, v76
	v_add_f16_e32 v14, v30, v49
	v_mul_f16_e32 v79, 0xbb7b, v78
	v_mul_f16_e32 v80, 0xb9fd, v63
	v_add_f16_e32 v15, v18, v15
	v_fmamk_f16 v17, v1, 0xbbf1, v77
	v_add_f16_e32 v16, v16, v2
	v_fmamk_f16 v18, v14, 0xb5ac, v79
	v_fmamk_f16 v81, v10, 0x394e, v80
	v_mul_f16_e32 v82, 0x2fb7, v66
	v_add_f16_e32 v2, v17, v15
	v_sub_f16_e32 v83, v70, v69
	v_add_f16_e32 v16, v18, v16
	v_add_f16_e32 v17, v4, v81
	v_fmamk_f16 v18, v5, 0xbbf1, v82
	v_mul_f16_e32 v81, 0x388b, v54
	v_mul_f16_e32 v85, 0xb94e, v60
	v_add_f16_e32 v15, v27, v28
	v_mul_f16_e32 v84, 0x3bf1, v83
	v_add_f16_e32 v17, v18, v17
	v_fmamk_f16 v18, v6, 0x3a95, v81
	v_mul_f16_e32 v86, 0xbbc4, v61
	v_fmamk_f16 v88, v3, 0xb9fd, v85
	v_mul_f16_e32 v89, 0x3bf1, v72
	v_fmamk_f16 v87, v15, 0x2fb7, v84
	v_add_f16_e32 v17, v18, v17
	v_fmamk_f16 v18, v7, 0xb3a8, v86
	v_mul_f16_e32 v90, 0x3b15, v50
	v_add_f16_e32 v88, v13, v88
	v_fmamk_f16 v91, v8, 0x2fb7, v89
	v_mul_f16_e32 v92, 0xba95, v48
	v_add_f16_e32 v17, v18, v17
	v_fmamk_f16 v18, v0, 0xb770, v90
	v_add_f16_e32 v16, v87, v16
	v_add_f16_e32 v87, v91, v88
	v_fmamk_f16 v88, v9, 0x388b, v92
	v_mul_f16_e32 v91, 0x33a8, v75
	v_add_f16_e32 v17, v18, v17
	v_mul_f16_e32 v99, 0xbb7b, v60
	v_mul_f16_e32 v103, 0x394e, v72
	v_add_f16_e32 v18, v88, v87
	v_fmamk_f16 v87, v11, 0xbbc4, v91
	v_mul_f16_e32 v88, 0x3770, v78
	v_fmamk_f16 v102, v3, 0xb5ac, v99
	v_mul_f16_e32 v93, 0xb5ac, v73
	v_mul_f16_e32 v94, 0xb5ac, v63
	v_add_f16_e32 v18, v87, v18
	v_fmamk_f16 v87, v14, 0x3b15, v88
	v_add_f16_e32 v102, v13, v102
	v_fmamk_f16 v105, v8, 0xb9fd, v103
	v_mul_f16_e32 v106, 0x3770, v48
	v_fmamk_f16 v95, v1, 0x3b7b, v93
	v_add_f16_e32 v18, v87, v18
	v_mul_f16_e32 v87, 0xbb7b, v83
	v_fmamk_f16 v96, v10, 0x3b7b, v94
	v_mul_f16_e32 v97, 0xb9fd, v66
	v_add_f16_e32 v17, v95, v17
	v_mul_f16_e32 v98, 0x3b15, v54
	v_fmamk_f16 v101, v15, 0xb5ac, v87
	v_add_f16_e32 v95, v4, v96
	v_fmamk_f16 v96, v5, 0xb94e, v97
	v_mul_f16_e32 v108, 0x33a8, v78
	v_mul_f16_e32 v100, 0x2fb7, v61
	v_add_f16_e32 v18, v101, v18
	v_add_f16_e32 v101, v105, v102
	v_fmamk_f16 v102, v9, 0x3b15, v106
	v_mul_f16_e32 v105, 0xbbf1, v75
	v_add_f16_e32 v95, v96, v95
	v_fmamk_f16 v96, v6, 0xb770, v98
	v_mul_f16_e32 v113, 0xbbf1, v60
	;; [unrolled: 3-line block ×3, first 2 shown]
	v_add_f16_e32 v95, v96, v95
	v_fmamk_f16 v96, v7, 0x3bf1, v100
	v_fmamk_f16 v116, v3, 0x2fb7, v113
	v_add_f16_e32 v101, v102, v101
	v_fmamk_f16 v102, v14, 0xbbc4, v108
	v_mul_f16_e32 v117, 0xb3a8, v72
	v_add_f16_e32 v95, v96, v95
	v_fmamk_f16 v96, v0, 0xb3a8, v104
	v_add_f16_e32 v116, v13, v116
	v_add_f16_e32 v101, v102, v101
	v_mul_f16_e32 v102, 0x3a95, v83
	v_fmamk_f16 v119, v8, 0xbbc4, v117
	v_mul_f16_e32 v120, 0x3b7b, v48
	v_add_f16_e32 v95, v96, v95
	v_mul_f16_e32 v96, 0x388b, v73
	v_fmamk_f16 v115, v15, 0x388b, v102
	v_mul_f16_e32 v107, 0x2fb7, v63
	v_mul_f16_e32 v111, 0xbbc4, v66
	;; [unrolled: 1-line block ×3, first 2 shown]
	v_fmamk_f16 v109, v1, 0xba95, v96
	v_add_f16_e32 v101, v115, v101
	v_add_f16_e32 v115, v119, v116
	v_fmamk_f16 v116, v9, 0xb5ac, v120
	v_mul_f16_e32 v119, 0x3770, v75
	v_fmamk_f16 v110, v10, 0x3bf1, v107
	v_add_f16_e32 v95, v109, v95
	v_mul_f16_e32 v112, 0xb5ac, v54
	v_add_f16_e32 v115, v116, v115
	v_fmamk_f16 v116, v11, 0x3b15, v119
	v_add_f16_e32 v109, v4, v110
	v_fmamk_f16 v110, v5, 0x33a8, v111
	v_mul_f16_e32 v114, 0x3b15, v61
	v_mul_f16_e32 v118, 0x388b, v50
	v_add_f16_e32 v115, v116, v115
	v_fmamk_f16 v116, v14, 0x388b, v122
	v_add_f16_e32 v109, v110, v109
	v_fmamk_f16 v110, v6, 0xbb7b, v112
	v_mul_f16_e64 v130, 0xbb7b, v72
	v_mul_f16_e64 v133, 0xb3a8, v48
	v_add_f16_e32 v115, v116, v115
	v_mul_f16_e32 v116, 0xba95, v60
	v_add_f16_e32 v109, v110, v109
	v_fmamk_f16 v110, v7, 0xb770, v114
	v_fma_f16 v132, 0xb5ac, v8, v130
	v_add_f16_e32 v58, v13, v58
	v_fma_f16 v129, 0x388b, v3, v116
	v_mul_f16_e64 v135, 0x394e, v75
	v_add_f16_e32 v109, v110, v109
	v_fmamk_f16 v110, v0, 0x3a95, v118
	v_add_f16_e32 v62, v62, v4
	v_add_f16_e64 v129, v13, v129
	v_add_f16_e32 v55, v55, v58
	v_mul_f16_e32 v124, 0xb5ac, v66
	v_add_f16_e32 v109, v110, v109
	v_mul_f16_e32 v110, 0x388b, v63
	v_add_f16_e64 v129, v132, v129
	v_fma_f16 v132, 0xbbc4, v9, v133
	v_mul_f16_e32 v63, 0x3b15, v63
	v_mul_f16_e64 v128, 0xb94e, v83
	v_fmamk_f16 v123, v10, 0x3a95, v110
	v_mul_f16_e64 v136, 0x3bf1, v78
	v_add_f16_e64 v129, v132, v129
	v_fma_f16 v132, 0xb9fd, v11, v135
	v_fma_f16 v137, 0x3770, v10, v63
	v_mul_f16_e32 v66, 0x388b, v66
	v_add_f16_e32 v62, v64, v62
	v_add_f16_e32 v24, v24, v55
	;; [unrolled: 1-line block ×3, first 2 shown]
	v_fmamk_f16 v126, v5, 0x3b7b, v124
	v_mul_f16_e32 v127, 0xbbc4, v54
	v_fma_f16 v134, 0xb9fd, v15, v128
	v_add_f16_e64 v129, v132, v129
	v_fma_f16 v132, 0x2fb7, v14, v136
	v_add_f16_e64 v137, v4, v137
	v_fma_f16 v139, 0x3a95, v5, v66
	v_mul_f16_e32 v54, 0x2fb7, v54
	v_add_f16_e32 v62, v67, v62
	v_add_f16_e32 v24, v51, v24
	;; [unrolled: 1-line block ×3, first 2 shown]
	v_mul_f16_e32 v126, 0xb9fd, v61
	v_add_f16_e64 v115, v134, v115
	v_add_f16_e64 v129, v132, v129
	;; [unrolled: 1-line block ×3, first 2 shown]
	v_fma_f16 v134, 0x3bf1, v6, v54
	v_mul_f16_e32 v61, 0xb5ac, v61
	v_add_f16_e32 v26, v26, v62
	v_add_f16_e32 v24, v49, v24
	v_mul_f16_e32 v60, 0xb770, v60
	v_add_f16_e64 v58, v134, v132
	v_fmamk_f16 v64, v7, 0x3b7b, v61
	v_add_f16_e32 v26, v65, v26
	v_add_f16_e32 v24, v28, v24
	v_mul_f16_e32 v51, 0xba95, v72
	v_mul_f16_e32 v48, 0xbbf1, v48
	v_add_f16_e32 v58, v64, v58
	v_fmamk_f16 v64, v3, 0x3b15, v60
	v_add_f16_e32 v26, v70, v26
	v_add_f16_e32 v24, v27, v24
	v_fmamk_f16 v49, v8, 0x388b, v51
	v_fmac_f16_e32 v46, 0xb3a8, v10
	v_add_f16_e32 v62, v13, v64
	v_add_f16_e32 v26, v69, v26
	;; [unrolled: 1-line block ×3, first 2 shown]
	v_mul_f16_e32 v30, 0xb94e, v78
	v_fmac_f16_e32 v80, 0xb94e, v10
	v_add_f16_e32 v28, v49, v62
	v_fmamk_f16 v49, v9, 0x2fb7, v48
	v_mul_f16_e32 v62, 0xbb7b, v75
	v_add_f16_e32 v22, v22, v26
	v_add_f16_e32 v24, v52, v24
	v_fmac_f16_e32 v21, 0x3770, v5
	v_add_f16_e32 v28, v49, v28
	v_fmamk_f16 v49, v11, 0xb5ac, v62
	v_add_f16_e32 v20, v20, v22
	v_add_f16_e32 v24, v53, v24
	v_mul_f16_e32 v22, 0xb3a8, v83
	v_fmac_f16_e32 v82, 0x3bf1, v5
	v_add_f16_e32 v28, v49, v28
	v_fmamk_f16 v49, v14, 0xb9fd, v30
	v_add_f16_e32 v20, v68, v20
	v_add_f16_e32 v24, v56, v24
	v_fmac_f16_e32 v59, 0xb94e, v6
	v_fma_f16 v29, v9, 0xb9fd, -v29
	v_add_f16_e32 v28, v49, v28
	v_fmamk_f16 v49, v15, 0xbbc4, v22
	v_add_f16_e32 v20, v57, v20
	v_add_f16_e32 v24, v47, v24
	v_fma_f16 v47, v3, 0xbbc4, -v71
	v_fmac_f16_e32 v81, 0xba95, v6
	v_add_f16_e32 v28, v49, v28
	v_add_f16_e32 v20, v25, v20
	;; [unrolled: 1-line block ×4, first 2 shown]
	v_fma_f16 v47, v8, 0x3b15, -v74
	v_add_f16_e32 v49, v4, v80
	v_fmac_f16_e32 v19, 0x3a95, v7
	v_add_f16_e32 v21, v21, v25
	v_fmac_f16_e32 v86, 0x33a8, v7
	v_add_f16_e32 v25, v47, v46
	v_add_f16_e32 v46, v82, v49
	v_fmac_f16_e32 v90, 0x3770, v0
	v_add_f16_e32 v21, v59, v21
	v_fmac_f16_e32 v94, 0xbb7b, v10
	v_add_f16_e32 v25, v29, v25
	v_fma_f16 v29, v11, 0x388b, -v76
	v_add_f16_e32 v46, v81, v46
	v_add_f16_e32 v19, v19, v21
	v_add_f16_e32 v47, v4, v94
	v_fmac_f16_e32 v97, 0x394e, v5
	v_add_f16_e32 v21, v29, v25
	v_fma_f16 v25, v14, 0xb5ac, -v79
	v_add_f16_e32 v29, v86, v46
	v_fma_f16 v46, v8, 0x2fb7, -v89
	v_add_f16_e32 v47, v97, v47
	v_fmac_f16_e32 v98, 0x3770, v6
	v_add_f16_e32 v21, v25, v21
	v_add_f16_e32 v25, v90, v29
	v_fma_f16 v29, v3, 0xb9fd, -v85
	v_fmac_f16_e32 v100, 0xbbf1, v7
	v_add_f16_e32 v47, v98, v47
	v_fmac_f16_e32 v23, 0xbb7b, v0
	v_mul_f16_e64 v131, 0x2fb7, v50
	v_add_f16_e32 v29, v13, v29
	v_mul_f16_e32 v50, 0xb9fd, v50
	v_add_f16_e32 v47, v100, v47
	v_fmac_f16_e32 v104, 0x33a8, v0
	v_add_f16_e32 v19, v23, v19
	v_add_f16_e32 v29, v46, v29
	v_fma_f16 v46, v9, 0x388b, -v92
	v_fma_f16 v23, v15, 0x2fb7, -v84
	v_fmac_f16_e32 v93, 0xbb7b, v1
	v_mul_f16_e32 v121, 0xb9fd, v73
	v_mul_f16_e64 v137, 0x3770, v83
	v_add_f16_e32 v29, v46, v29
	v_fma_f16 v46, v11, 0xbbc4, -v91
	v_fmamk_f16 v64, v0, 0x394e, v50
	v_mul_f16_e32 v26, 0xbbc4, v73
	v_add_f16_e32 v47, v104, v47
	v_fmac_f16_e32 v96, 0x3a95, v1
	v_add_f16_e32 v29, v46, v29
	v_fma_f16 v46, v14, 0x3b15, -v88
	v_add_f16_e32 v21, v23, v21
	v_add_f16_e32 v23, v93, v25
	v_fma_f16 v25, v3, 0xb5ac, -v99
	v_fmamk_f16 v125, v1, 0x394e, v121
	v_add_f16_e32 v29, v46, v29
	v_fma_f16 v46, v15, 0xb5ac, -v87
	v_fma_f16 v55, 0x3b15, v15, v137
	v_add_f16_e32 v27, v64, v58
	v_fmamk_f16 v52, v1, 0x33a8, v26
	v_fmac_f16_e32 v110, 0xba95, v10
	v_add_f16_e32 v29, v46, v29
	v_add_f16_e32 v46, v96, v47
	v_fma_f16 v47, v3, 0x2fb7, -v113
	v_add_f16_e32 v25, v13, v25
	v_fma_f16 v49, v8, 0xb9fd, -v103
	v_add_f16_e32 v109, v125, v109
	v_fmamk_f16 v125, v6, 0x33a8, v127
	v_add_f16_e64 v53, v55, v129
	v_add_f16_e32 v27, v52, v27
	v_add_f16_e32 v47, v13, v47
	v_fma_f16 v52, v8, 0xbbc4, -v117
	v_add_f16_e32 v55, v4, v110
	v_fmac_f16_e32 v124, 0xbb7b, v5
	v_add_f16_e32 v25, v49, v25
	v_fma_f16 v49, v9, 0x3b15, -v106
	v_add_f16_e32 v123, v125, v123
	v_fmamk_f16 v125, v7, 0xb94e, v126
	v_add_f16_e32 v47, v52, v47
	v_fma_f16 v52, v9, 0xb5ac, -v120
	v_add_f16_e32 v55, v124, v55
	v_fmac_f16_e32 v127, 0xb3a8, v6
	v_add_f16_e32 v25, v49, v25
	v_fma_f16 v49, v11, 0x2fb7, -v105
	v_add_f16_e32 v123, v125, v123
	v_fma_f16 v125, 0xbbf1, v0, v131
	v_add_f16_e32 v47, v52, v47
	v_fma_f16 v52, v11, 0x3b15, -v119
	v_add_f16_e32 v55, v127, v55
	v_fmac_f16_e32 v126, 0x394e, v7
	v_add_f16_e32 v25, v49, v25
	v_fma_f16 v49, v14, 0xbbc4, -v108
	v_add_f16_e32 v123, v125, v123
	v_mul_f16_e32 v125, 0x3b15, v73
	v_add_f16_e32 v47, v52, v47
	v_fma_f16 v52, v14, 0x388b, -v122
	v_add_f16_e32 v55, v126, v55
	v_fmac_f16_e64 v131, 0x3bf1, v0
	v_add_f16_e32 v25, v49, v25
	v_fma_f16 v49, v15, 0x388b, -v102
	v_fmac_f16_e32 v107, 0xbbf1, v10
	v_fma_f16 v138, 0xb770, v1, v125
	v_add_f16_e32 v47, v52, v47
	v_fma_f16 v52, v15, 0xb9fd, -v128
	v_add_f16_e64 v55, v131, v55
	v_fmac_f16_e32 v125, 0x3770, v1
	v_fma_f16 v56, v3, 0x388b, -v116
	v_fmac_f16_e32 v63, 0xb770, v10
	v_fma_f16 v3, v3, 0x3b15, -v60
	v_add_f16_e32 v25, v49, v25
	v_add_f16_e32 v49, v4, v107
	v_fmac_f16_e32 v111, 0xb3a8, v5
	v_add_f16_e32 v47, v52, v47
	v_add_f16_e32 v10, v125, v55
	;; [unrolled: 1-line block ×3, first 2 shown]
	v_fma_f16 v55, v8, 0xb5ac, -v130
	v_add_f16_e32 v4, v4, v63
	v_fmac_f16_e32 v66, 0xba95, v5
	v_add_f16_e32 v3, v13, v3
	v_fma_f16 v5, v8, 0x388b, -v51
	v_add_f16_e32 v49, v111, v49
	v_fmac_f16_e32 v112, 0x3b7b, v6
	v_add_f16_e32 v8, v55, v52
	;; [unrolled: 4-line block ×7, first 2 shown]
	v_fma_f16 v3, v14, 0xb9fd, -v30
	v_add_f16_e64 v123, v138, v123
	v_fmac_f16_e32 v77, 0x3bf1, v1
	v_add_f16_e32 v49, v118, v49
	v_fmac_f16_e32 v121, 0xb94e, v1
	v_add_f16_e32 v5, v7, v6
	v_fma_f16 v6, v15, 0x3b15, -v137
	v_add_f16_e32 v4, v50, v4
	v_fmac_f16_e32 v26, 0xb3a8, v1
	v_add_f16_e32 v0, v3, v0
	v_fma_f16 v1, v15, 0xbbc4, -v22
	v_pack_b32_f16 v3, v24, v20
	v_lshl_add_u32 v7, v38, 2, v45
	v_pack_b32_f16 v8, v28, v27
	v_pack_b32_f16 v9, v53, v123
	v_add_f16_e32 v19, v77, v19
	v_add_f16_e32 v49, v121, v49
	;; [unrolled: 1-line block ×5, first 2 shown]
	ds_store_b32 v36, v3
	ds_store_2addr_b32 v7, v8, v9 offset0:6 offset1:12
	v_pack_b32_f16 v1, v115, v109
	v_pack_b32_f16 v3, v101, v95
	;; [unrolled: 1-line block ×10, first 2 shown]
	ds_store_2addr_b32 v7, v1, v3 offset0:18 offset1:24
	ds_store_2addr_b32 v7, v6, v2 offset0:30 offset1:36
	ds_store_2addr_b32 v7, v8, v9 offset0:42 offset1:48
	ds_store_2addr_b32 v7, v11, v13 offset0:54 offset1:60
	ds_store_2addr_b32 v7, v5, v0 offset0:66 offset1:72
.LBB0_9:
	s_wait_alu 0xfffe
	s_or_b32 exec_lo, exec_lo, s2
	global_wb scope:SCOPE_SE
	s_wait_dscnt 0x0
	s_barrier_signal -1
	s_barrier_wait -1
	global_inv scope:SCOPE_SE
	ds_load_2addr_b32 v[0:1], v36 offset1:13
	ds_load_2addr_b32 v[2:3], v36 offset0:26 offset1:39
	s_mov_b32 s8, 0x1a41a41a
	s_mov_b32 s9, 0x3f8a41a4
	v_mad_co_u64_u32 v[15:16], null, s4, v38, 0
	s_wait_dscnt 0x1
	v_lshrrev_b32_e32 v4, 16, v0
	v_mul_f16_e32 v5, v44, v0
	v_lshrrev_b32_e32 v6, 16, v1
	v_mul_f16_e32 v7, v43, v1
	s_wait_dscnt 0x0
	v_lshrrev_b32_e32 v13, 16, v2
	v_mul_f16_e32 v8, v44, v4
	v_fma_f16 v5, v41, v4, -v5
	v_mul_f16_e32 v9, v43, v6
	v_fma_f16 v4, v40, v6, -v7
	v_mul_f16_e32 v10, v42, v13
	v_fmac_f16_e32 v8, v41, v0
	v_cvt_f32_f16_e32 v5, v5
	v_fmac_f16_e32 v9, v40, v1
	v_cvt_f32_f16_e32 v0, v4
	;; [unrolled: 2-line block ×3, first 2 shown]
	v_cvt_f64_f32_e32 v[4:5], v5
	v_mul_f16_e32 v2, v42, v2
	v_cvt_f64_f32_e32 v[6:7], v0
	v_cvt_f32_f16_e32 v10, v10
	v_cvt_f64_f32_e32 v[0:1], v8
	v_cvt_f32_f16_e32 v8, v9
	v_fma_f16 v2, v39, v13, -v2
	v_mad_co_u64_u32 v[13:14], null, s6, v12, 0
	v_cvt_f64_f32_e32 v[10:11], v10
	s_delay_alu instid0(VALU_DEP_4) | instskip(NEXT) | instid1(VALU_DEP_4)
	v_cvt_f64_f32_e32 v[8:9], v8
	v_cvt_f32_f16_e32 v2, v2
	s_delay_alu instid0(VALU_DEP_1) | instskip(SKIP_2) | instid1(VALU_DEP_2)
	v_cvt_f64_f32_e32 v[17:18], v2
	v_mov_b32_e32 v2, v14
	v_mov_b32_e32 v14, v16
	v_mad_co_u64_u32 v[19:20], null, s7, v12, v[2:3]
	s_delay_alu instid0(VALU_DEP_2) | instskip(SKIP_1) | instid1(VALU_DEP_2)
	v_mad_co_u64_u32 v[20:21], null, s5, v38, v[14:15]
	v_lshrrev_b32_e32 v2, 16, v3
	v_mov_b32_e32 v16, v20
	s_wait_alu 0xfffe
	v_mul_f64_e32 v[4:5], s[8:9], v[4:5]
	v_mul_f64_e32 v[6:7], s[8:9], v[6:7]
	;; [unrolled: 1-line block ×5, first 2 shown]
	v_and_or_b32 v4, 0x1ff, v5, v4
	v_and_or_b32 v6, 0x1ff, v7, v6
	v_bfe_u32 v21, v7, 20, 11
	v_bfe_u32 v23, v1, 20, 11
	v_mov_b32_e32 v14, v19
	v_mul_f16_e32 v19, v37, v2
	v_and_or_b32 v0, 0x1ff, v1, v0
	v_lshrrev_b32_e32 v20, 8, v7
	v_sub_nc_u32_e32 v30, 0x3f1, v23
	v_add_nc_u32_e32 v23, 0xfffffc10, v23
	v_lshlrev_b64_e32 v[12:13], 2, v[13:14]
	v_lshlrev_b64_e32 v[14:15], 2, v[15:16]
	v_fmac_f16_e32 v19, v35, v3
	v_and_or_b32 v8, 0x1ff, v9, v8
	v_and_or_b32 v10, 0x1ff, v11, v10
	v_lshrrev_b32_e32 v22, 8, v1
	v_add_co_u32 v12, vcc_lo, s0, v12
	s_wait_alu 0xfffd
	v_add_co_ci_u32_e32 v13, vcc_lo, s1, v13, vcc_lo
	v_cvt_f32_f16_e32 v16, v19
	s_delay_alu instid0(VALU_DEP_3) | instskip(SKIP_1) | instid1(VALU_DEP_3)
	v_add_co_u32 v12, vcc_lo, v12, v14
	s_wait_alu 0xfffd
	v_add_co_ci_u32_e32 v13, vcc_lo, v13, v15, vcc_lo
	v_cmp_ne_u32_e32 vcc_lo, 0, v4
	v_cvt_f64_f32_e32 v[14:15], v16
	v_mul_f64_e32 v[16:17], s[8:9], v[17:18]
	v_lshrrev_b32_e32 v18, 8, v5
	v_bfe_u32 v19, v5, 20, 11
	s_wait_alu 0xfffd
	v_cndmask_b32_e64 v4, 0, 1, vcc_lo
	v_cmp_ne_u32_e32 vcc_lo, 0, v6
	v_sub_nc_u32_e32 v27, 0x3f1, v21
	v_lshrrev_b32_e32 v25, 8, v9
	v_sub_nc_u32_e32 v24, 0x3f1, v19
	v_and_or_b32 v4, 0xffe, v18, v4
	s_wait_alu 0xfffd
	v_cndmask_b32_e64 v6, 0, 1, vcc_lo
	v_cmp_ne_u32_e32 vcc_lo, 0, v0
	v_add_nc_u32_e32 v19, 0xfffffc10, v19
	v_med3_i32 v18, v24, 0, 13
	v_bfe_u32 v26, v9, 20, 11
	v_and_or_b32 v6, 0xffe, v20, v6
	s_wait_alu 0xfffd
	v_cndmask_b32_e64 v0, 0, 1, vcc_lo
	v_cmp_ne_u32_e32 vcc_lo, 0, v8
	v_med3_i32 v20, v27, 0, 13
	v_or_b32_e32 v27, 0x1000, v4
	v_sub_nc_u32_e32 v24, 0x3f1, v26
	v_and_or_b32 v0, 0xffe, v22, v0
	s_wait_alu 0xfffd
	v_cndmask_b32_e64 v8, 0, 1, vcc_lo
	v_cmp_ne_u32_e32 vcc_lo, 0, v10
	v_med3_i32 v22, v30, 0, 13
	v_lshl_or_b32 v30, v19, 12, v4
	v_or_b32_e32 v39, 0x1000, v0
	v_and_or_b32 v8, 0xffe, v25, v8
	s_wait_alu 0xfffd
	v_cndmask_b32_e64 v10, 0, 1, vcc_lo
	v_cmp_ne_u32_e32 vcc_lo, 0, v4
	v_lshrrev_b32_e32 v41, v18, v27
	v_add_nc_u32_e32 v26, 0xfffffc10, v26
	v_or_b32_e32 v25, 0x1000, v6
	v_lshl_or_b32 v40, v23, 12, v0
	s_wait_alu 0xfffd
	v_cndmask_b32_e64 v4, 0, 1, vcc_lo
	v_cmp_ne_u32_e32 vcc_lo, 0, v0
	v_lshrrev_b32_e32 v45, v22, v39
	v_lshlrev_b32_e32 v18, v18, v41
	v_med3_i32 v24, v24, 0, 13
	v_or_b32_e32 v42, 0x1000, v8
	s_wait_alu 0xfffd
	v_cndmask_b32_e64 v0, 0, 1, vcc_lo
	v_cmp_ne_u32_e32 vcc_lo, 0, v8
	v_lshl_or_b32 v43, v26, 12, v8
	v_lshrrev_b32_e32 v44, v20, v25
	v_lshlrev_b32_e32 v22, v22, v45
	v_lshrrev_b32_e32 v46, v24, v42
	s_wait_alu 0xfffd
	v_cndmask_b32_e64 v8, 0, 1, vcc_lo
	v_cmp_ne_u32_e32 vcc_lo, v18, v27
	v_lshlrev_b32_e32 v20, v20, v44
	v_add_nc_u32_e32 v21, 0xfffffc10, v21
	v_lshlrev_b32_e32 v24, v24, v46
	v_lshl_or_b32 v0, v0, 9, 0x7c00
	s_wait_alu 0xfffd
	v_cndmask_b32_e64 v18, 0, 1, vcc_lo
	v_cmp_ne_u32_e32 vcc_lo, v22, v39
	v_lshl_or_b32 v38, v21, 12, v6
	v_lshrrev_b32_e32 v1, 16, v1
	v_lshl_or_b32 v4, v4, 9, 0x7c00
	v_or_b32_e32 v18, v41, v18
	s_wait_alu 0xfffd
	v_cndmask_b32_e64 v22, 0, 1, vcc_lo
	v_cmp_ne_u32_e32 vcc_lo, v20, v25
	v_lshrrev_b32_e32 v5, 16, v5
	v_lshl_or_b32 v8, v8, 9, 0x7c00
	v_lshrrev_b32_e32 v28, 8, v11
	v_or_b32_e32 v22, v45, v22
	s_wait_alu 0xfffd
	v_cndmask_b32_e64 v20, 0, 1, vcc_lo
	v_cmp_ne_u32_e32 vcc_lo, v24, v42
	v_bfe_u32 v29, v11, 20, 11
	v_and_or_b32 v10, 0xffe, v28, v10
	v_lshrrev_b32_e32 v9, 16, v9
	v_or_b32_e32 v20, v44, v20
	s_wait_alu 0xfffd
	v_cndmask_b32_e64 v24, 0, 1, vcc_lo
	v_cmp_gt_i32_e32 vcc_lo, 1, v19
	v_mul_f16_e32 v3, v37, v3
	v_lshrrev_b32_e32 v7, 16, v7
	v_lshrrev_b32_e32 v11, 16, v11
	v_or_b32_e32 v24, v46, v24
	s_wait_alu 0xfffd
	v_cndmask_b32_e32 v18, v30, v18, vcc_lo
	v_cmp_gt_i32_e32 vcc_lo, 1, v23
	v_fma_f16 v2, v35, v2, -v3
	s_delay_alu instid0(VALU_DEP_3) | instskip(SKIP_3) | instid1(VALU_DEP_3)
	v_and_b32_e32 v25, 7, v18
	s_wait_alu 0xfffd
	v_cndmask_b32_e32 v22, v40, v22, vcc_lo
	v_cmp_gt_i32_e32 vcc_lo, 1, v21
	v_cmp_lt_i32_e64 s1, 5, v25
	s_wait_alu 0xfffd
	s_delay_alu instid0(VALU_DEP_3) | instskip(SKIP_3) | instid1(VALU_DEP_4)
	v_dual_cndmask_b32 v20, v38, v20 :: v_dual_and_b32 v27, 7, v22
	v_cmp_gt_i32_e32 vcc_lo, 1, v26
	v_lshrrev_b32_e32 v22, 2, v22
	v_cmp_eq_u32_e64 s2, 3, v25
	v_cmp_eq_u32_e64 s0, 3, v27
	s_wait_alu 0xfffd
	v_cndmask_b32_e32 v24, v43, v24, vcc_lo
	v_cmp_lt_i32_e32 vcc_lo, 5, v27
	s_delay_alu instid0(VALU_DEP_2)
	v_and_b32_e32 v25, 7, v24
	v_lshrrev_b32_e32 v18, 2, v18
	s_or_b32 vcc_lo, s0, vcc_lo
	v_cmp_gt_i32_e64 s0, 31, v23
	s_wait_alu 0xfffe
	v_add_co_ci_u32_e32 v22, vcc_lo, 0, v22, vcc_lo
	s_or_b32 vcc_lo, s2, s1
	v_cmp_gt_i32_e64 s1, 31, v19
	s_wait_alu 0xfffe
	v_add_co_ci_u32_e32 v18, vcc_lo, 0, v18, vcc_lo
	v_cmp_lt_i32_e32 vcc_lo, 5, v25
	v_cndmask_b32_e64 v22, 0x7c00, v22, s0
	v_cmp_eq_u32_e64 s0, 3, v25
	v_lshrrev_b32_e32 v24, 2, v24
	s_wait_alu 0xf1ff
	v_cndmask_b32_e64 v18, 0x7c00, v18, s1
	v_cmp_eq_u32_e64 s1, 0x40f, v23
	s_mul_u64 s[2:3], s[4:5], 52
	s_or_b32 vcc_lo, s0, vcc_lo
	s_delay_alu instid0(VALU_DEP_1)
	v_cndmask_b32_e64 v0, v22, v0, s1
	s_wait_alu 0xfffe
	v_add_co_ci_u32_e32 v22, vcc_lo, 0, v24, vcc_lo
	v_cmp_eq_u32_e32 vcc_lo, 0x40f, v19
	v_cmp_eq_u32_e64 s1, 0x40f, v26
	v_and_or_b32 v0, 0x8000, v1, v0
	v_and_b32_e32 v1, 7, v20
	v_lshrrev_b32_e32 v19, 8, v17
	s_wait_alu 0xfffd
	v_cndmask_b32_e32 v4, v18, v4, vcc_lo
	v_cmp_gt_i32_e32 vcc_lo, 31, v26
	v_and_b32_e32 v0, 0xffff, v0
	v_cmp_eq_u32_e64 s0, 3, v1
	s_delay_alu instid0(VALU_DEP_4) | instskip(SKIP_4) | instid1(VALU_DEP_2)
	v_and_or_b32 v4, 0x8000, v5, v4
	s_wait_alu 0xfffd
	v_cndmask_b32_e32 v18, 0x7c00, v22, vcc_lo
	v_cmp_lt_i32_e32 vcc_lo, 5, v1
	s_wait_alu 0xf1ff
	v_cndmask_b32_e64 v1, v18, v8, s1
	v_lshl_or_b32 v8, v4, 16, v0
	v_lshrrev_b32_e32 v0, 2, v20
	s_or_b32 vcc_lo, s0, vcc_lo
	v_sub_nc_u32_e32 v4, 0x3f1, v29
	v_and_or_b32 v9, 0x8000, v9, v1
	v_and_or_b32 v1, 0x1ff, v17, v16
	s_wait_alu 0xfffe
	v_add_co_ci_u32_e32 v0, vcc_lo, 0, v0, vcc_lo
	v_cmp_ne_u32_e32 vcc_lo, 0, v6
	v_or_b32_e32 v6, 0x1000, v10
	v_med3_i32 v4, v4, 0, 13
	v_bfe_u32 v20, v17, 20, 11
	v_and_b32_e32 v9, 0xffff, v9
	s_wait_alu 0xfffd
	v_cndmask_b32_e64 v5, 0, 1, vcc_lo
	v_cmp_gt_i32_e32 vcc_lo, 31, v21
	v_lshrrev_b32_e32 v18, v4, v6
	global_store_b32 v[12:13], v8, off
	v_lshl_or_b32 v5, v5, 9, 0x7c00
	s_wait_alu 0xfffd
	v_cndmask_b32_e32 v0, 0x7c00, v0, vcc_lo
	v_cmp_eq_u32_e32 vcc_lo, 0x40f, v21
	v_lshlrev_b32_e32 v4, v4, v18
	s_wait_alu 0xfffd
	s_delay_alu instid0(VALU_DEP_3) | instskip(SKIP_3) | instid1(VALU_DEP_4)
	v_cndmask_b32_e32 v16, v0, v5, vcc_lo
	v_cmp_ne_u32_e32 vcc_lo, 0, v1
	v_mul_f64_e32 v[0:1], s[8:9], v[14:15]
	v_add_nc_u32_e32 v14, 0xfffffc10, v29
	v_and_or_b32 v7, 0x8000, v7, v16
	s_wait_alu 0xfffd
	v_cndmask_b32_e64 v5, 0, 1, vcc_lo
	v_cmp_ne_u32_e32 vcc_lo, v4, v6
	v_sub_nc_u32_e32 v6, 0x3f1, v20
	v_cmp_eq_u32_e64 s1, 0x40f, v14
	s_delay_alu instid0(VALU_DEP_4)
	v_and_or_b32 v15, 0xffe, v19, v5
	s_wait_alu 0xfffd
	v_cndmask_b32_e64 v4, 0, 1, vcc_lo
	v_cvt_f32_f16_e32 v5, v2
	ds_load_2addr_b32 v[2:3], v36 offset0:52 offset1:65
	v_lshl_or_b32 v19, v14, 12, v10
	v_or_b32_e32 v21, 0x1000, v15
	v_or_b32_e32 v18, v18, v4
	v_cvt_f64_f32_e32 v[4:5], v5
	v_med3_i32 v6, v6, 0, 13
	v_cmp_gt_i32_e32 vcc_lo, 1, v14
	s_wait_alu 0xfffd
	v_cndmask_b32_e32 v16, v19, v18, vcc_lo
	s_delay_alu instid0(VALU_DEP_3) | instskip(SKIP_1) | instid1(VALU_DEP_3)
	v_lshrrev_b32_e32 v18, v6, v21
	v_lshl_or_b32 v19, v7, 16, v9
	v_and_b32_e32 v8, 7, v16
	s_delay_alu instid0(VALU_DEP_3)
	v_lshlrev_b32_e32 v9, v6, v18
	v_add_co_u32 v6, vcc_lo, v12, s2
	s_wait_dscnt 0x0
	v_lshrrev_b32_e32 v12, 16, v2
	s_wait_alu 0xfffd
	v_add_co_ci_u32_e32 v7, vcc_lo, s3, v13, vcc_lo
	v_cmp_ne_u32_e64 s0, v9, v21
	v_cmp_lt_i32_e32 vcc_lo, 5, v8
	v_add_nc_u32_e32 v13, 0xfffffc10, v20
	v_mul_f16_e32 v20, v34, v12
	v_and_or_b32 v0, 0x1ff, v1, v0
	s_wait_alu 0xf1ff
	v_cndmask_b32_e64 v9, 0, 1, s0
	v_cmp_eq_u32_e64 s0, 3, v8
	v_lshrrev_b32_e32 v8, 2, v16
	v_fmac_f16_e32 v20, v33, v2
	v_lshl_or_b32 v16, v13, 12, v15
	v_or_b32_e32 v9, v18, v9
	s_or_b32 vcc_lo, s0, vcc_lo
	v_bfe_u32 v21, v1, 20, 11
	s_wait_alu 0xfffe
	v_add_co_ci_u32_e32 v18, vcc_lo, 0, v8, vcc_lo
	v_cmp_gt_i32_e32 vcc_lo, 1, v13
	v_cvt_f32_f16_e32 v8, v20
	v_lshrrev_b32_e32 v20, 8, v1
	v_mul_f16_e32 v2, v34, v2
	v_mul_f64_e32 v[4:5], s[8:9], v[4:5]
	s_wait_alu 0xfffd
	v_cndmask_b32_e32 v16, v16, v9, vcc_lo
	v_cmp_ne_u32_e32 vcc_lo, 0, v0
	v_cvt_f64_f32_e32 v[8:9], v8
	v_fma_f16 v2, v33, v12, -v2
	s_delay_alu instid0(VALU_DEP_4)
	v_and_b32_e32 v22, 7, v16
	s_wait_alu 0xfffd
	v_cndmask_b32_e64 v0, 0, 1, vcc_lo
	v_cmp_ne_u32_e32 vcc_lo, 0, v10
	v_lshrrev_b32_e32 v16, 2, v16
	v_cvt_f32_f16_e32 v2, v2
	v_cmp_eq_u32_e64 s0, 3, v22
	v_and_or_b32 v0, 0xffe, v20, v0
	s_wait_alu 0xfffd
	v_cndmask_b32_e64 v10, 0, 1, vcc_lo
	v_cmp_gt_i32_e32 vcc_lo, 31, v14
	v_sub_nc_u32_e32 v20, 0x3f1, v21
	v_add_nc_u32_e32 v21, 0xfffffc10, v21
	v_or_b32_e32 v23, 0x1000, v0
	v_lshl_or_b32 v10, v10, 9, 0x7c00
	s_wait_alu 0xfffd
	v_cndmask_b32_e32 v18, 0x7c00, v18, vcc_lo
	v_cmp_lt_i32_e32 vcc_lo, 5, v22
	v_med3_i32 v20, v20, 0, 13
	s_delay_alu instid0(VALU_DEP_3) | instskip(SKIP_1) | instid1(VALU_DEP_2)
	v_cndmask_b32_e64 v10, v18, v10, s1
	s_or_b32 vcc_lo, s0, vcc_lo
	v_lshrrev_b32_e32 v14, v20, v23
	s_wait_alu 0xfffe
	v_add_co_ci_u32_e32 v16, vcc_lo, 0, v16, vcc_lo
	v_cmp_ne_u32_e32 vcc_lo, 0, v15
	s_delay_alu instid0(VALU_DEP_3)
	v_lshlrev_b32_e32 v18, v20, v14
	v_and_or_b32 v20, 0x8000, v11, v10
	s_wait_alu 0xfffd
	v_cndmask_b32_e64 v15, 0, 1, vcc_lo
	v_cmp_gt_i32_e32 vcc_lo, 31, v13
	v_and_or_b32 v4, 0x1ff, v5, v4
	s_delay_alu instid0(VALU_DEP_3)
	v_lshl_or_b32 v15, v15, 9, 0x7c00
	s_wait_alu 0xfffd
	v_cndmask_b32_e32 v16, 0x7c00, v16, vcc_lo
	v_cmp_ne_u32_e32 vcc_lo, v18, v23
	v_mul_f64_e32 v[8:9], s[8:9], v[8:9]
	s_wait_alu 0xfffd
	v_cndmask_b32_e64 v18, 0, 1, vcc_lo
	v_cmp_eq_u32_e32 vcc_lo, 0x40f, v13
	v_lshl_or_b32 v13, v21, 12, v0
	s_delay_alu instid0(VALU_DEP_3)
	v_or_b32_e32 v11, v14, v18
	s_wait_alu 0xfffd
	v_cndmask_b32_e32 v10, v16, v15, vcc_lo
	v_cmp_gt_i32_e32 vcc_lo, 1, v21
	v_lshrrev_b32_e32 v14, 16, v17
	v_bfe_u32 v15, v5, 20, 11
	v_lshrrev_b32_e32 v17, 16, v3
	s_wait_alu 0xfffd
	v_cndmask_b32_e32 v12, v13, v11, vcc_lo
	v_cmp_ne_u32_e32 vcc_lo, 0, v4
	v_lshrrev_b32_e32 v13, 8, v5
	v_and_or_b32 v14, 0x8000, v14, v10
	v_cvt_f64_f32_e32 v[10:11], v2
	v_and_b32_e32 v16, 7, v12
	s_wait_alu 0xfffd
	v_cndmask_b32_e64 v4, 0, 1, vcc_lo
	v_sub_nc_u32_e32 v2, 0x3f1, v15
	v_lshrrev_b32_e32 v12, 2, v12
	v_add_nc_u32_e32 v15, 0xfffffc10, v15
	v_cmp_lt_i32_e32 vcc_lo, 5, v16
	v_and_or_b32 v4, 0xffe, v13, v4
	v_cmp_eq_u32_e64 s0, 3, v16
	v_and_b32_e32 v13, 0xffff, v20
	v_med3_i32 v2, v2, 0, 13
	v_mul_f16_e32 v20, v32, v17
	v_or_b32_e32 v18, 0x1000, v4
	s_or_b32 vcc_lo, s0, vcc_lo
	v_lshl_or_b32 v14, v14, 16, v13
	s_wait_alu 0xfffe
	v_add_co_ci_u32_e32 v12, vcc_lo, 0, v12, vcc_lo
	v_lshrrev_b32_e32 v16, v2, v18
	v_fmac_f16_e32 v20, v31, v3
	v_cmp_ne_u32_e32 vcc_lo, 0, v0
	v_and_or_b32 v8, 0x1ff, v9, v8
	v_mul_f16_e32 v3, v32, v3
	v_lshlrev_b32_e32 v2, v2, v16
	v_cvt_f32_f16_e32 v13, v20
	s_wait_alu 0xfffd
	v_cndmask_b32_e64 v0, 0, 1, vcc_lo
	v_cmp_gt_i32_e32 vcc_lo, 31, v21
	v_bfe_u32 v22, v9, 20, 11
	v_fma_f16 v17, v31, v17, -v3
	v_lshl_or_b32 v23, v15, 12, v4
	v_lshl_or_b32 v0, v0, 9, 0x7c00
	s_wait_alu 0xfffd
	v_cndmask_b32_e32 v20, 0x7c00, v12, vcc_lo
	v_cvt_f64_f32_e32 v[12:13], v13
	v_cmp_ne_u32_e32 vcc_lo, v2, v18
	v_lshrrev_b32_e32 v18, 8, v9
	v_lshrrev_b32_e32 v9, 16, v9
	s_wait_alu 0xfffd
	v_cndmask_b32_e64 v2, 0, 1, vcc_lo
	v_cmp_ne_u32_e32 vcc_lo, 0, v8
	s_delay_alu instid0(VALU_DEP_2)
	v_or_b32_e32 v16, v16, v2
	s_wait_alu 0xfffd
	v_cndmask_b32_e64 v8, 0, 1, vcc_lo
	v_cmp_gt_i32_e32 vcc_lo, 1, v15
	v_mul_f64_e32 v[2:3], s[8:9], v[10:11]
	v_sub_nc_u32_e32 v10, 0x3f1, v22
	v_cvt_f32_f16_e32 v11, v17
	v_and_or_b32 v8, 0xffe, v18, v8
	s_wait_alu 0xfffd
	v_cndmask_b32_e32 v16, v23, v16, vcc_lo
	v_cmp_eq_u32_e32 vcc_lo, 0x40f, v21
	v_med3_i32 v18, v10, 0, 13
	v_cvt_f64_f32_e32 v[10:11], v11
	v_or_b32_e32 v17, 0x1000, v8
	v_and_b32_e32 v23, 7, v16
	s_wait_alu 0xfffd
	v_cndmask_b32_e32 v20, v20, v0, vcc_lo
	v_add_co_u32 v0, vcc_lo, v6, s2
	v_lshrrev_b32_e32 v24, v18, v17
	v_lshrrev_b32_e32 v21, 16, v1
	s_wait_alu 0xfffd
	v_add_co_ci_u32_e32 v1, vcc_lo, s3, v7, vcc_lo
	v_cmp_lt_i32_e32 vcc_lo, 5, v23
	v_cmp_eq_u32_e64 s0, 3, v23
	v_lshrrev_b32_e32 v16, 2, v16
	v_lshlrev_b32_e32 v18, v18, v24
	v_and_or_b32 v20, 0x8000, v21, v20
	s_delay_alu instid0(VALU_DEP_4)
	s_or_b32 vcc_lo, s0, vcc_lo
	v_mul_f64_e32 v[12:13], s[8:9], v[12:13]
	s_wait_alu 0xfffe
	v_add_co_ci_u32_e32 v16, vcc_lo, 0, v16, vcc_lo
	v_cmp_ne_u32_e64 s1, v18, v17
	v_cmp_ne_u32_e32 vcc_lo, 0, v4
	v_add_nc_u32_e32 v18, 0xfffffc10, v22
	s_wait_alu 0xf1ff
	s_delay_alu instid0(VALU_DEP_3)
	v_cndmask_b32_e64 v17, 0, 1, s1
	s_wait_alu 0xfffd
	v_cndmask_b32_e64 v4, 0, 1, vcc_lo
	v_cmp_gt_i32_e32 vcc_lo, 31, v15
	v_lshl_or_b32 v21, v18, 12, v8
	v_or_b32_e32 v17, v24, v17
	s_delay_alu instid0(VALU_DEP_4)
	v_lshl_or_b32 v4, v4, 9, 0x7c00
	s_wait_alu 0xfffd
	v_cndmask_b32_e32 v16, 0x7c00, v16, vcc_lo
	v_cmp_gt_i32_e32 vcc_lo, 1, v18
	v_and_or_b32 v2, 0x1ff, v3, v2
	v_lshrrev_b32_e32 v22, 8, v3
	s_wait_alu 0xfffd
	v_cndmask_b32_e32 v17, v21, v17, vcc_lo
	v_cmp_eq_u32_e32 vcc_lo, 0x40f, v15
	s_delay_alu instid0(VALU_DEP_2)
	v_and_b32_e32 v21, 7, v17
	s_wait_alu 0xfffd
	v_cndmask_b32_e32 v15, v16, v4, vcc_lo
	v_lshrrev_b32_e32 v16, 16, v5
	v_cmp_ne_u32_e32 vcc_lo, 0, v2
	v_mul_f64_e32 v[4:5], s[8:9], v[10:11]
	v_bfe_u32 v10, v3, 20, 11
	v_cmp_eq_u32_e64 s0, 3, v21
	v_and_or_b32 v11, 0x8000, v16, v15
	v_and_b32_e32 v15, 0xffff, v20
	s_wait_alu 0xfffd
	v_cndmask_b32_e64 v2, 0, 1, vcc_lo
	v_cmp_lt_i32_e32 vcc_lo, 5, v21
	v_sub_nc_u32_e32 v16, 0x3f1, v10
	v_and_or_b32 v12, 0x1ff, v13, v12
	v_lshl_or_b32 v11, v11, 16, v15
	v_lshrrev_b32_e32 v15, 2, v17
	v_and_or_b32 v2, 0xffe, v22, v2
	s_or_b32 vcc_lo, s0, vcc_lo
	v_med3_i32 v16, v16, 0, 13
	v_lshrrev_b32_e32 v21, 8, v13
	s_wait_alu 0xfffe
	v_add_co_ci_u32_e32 v15, vcc_lo, 0, v15, vcc_lo
	v_or_b32_e32 v17, 0x1000, v2
	v_cmp_ne_u32_e32 vcc_lo, 0, v8
	v_bfe_u32 v22, v13, 20, 11
	v_add_nc_u32_e32 v10, 0xfffffc10, v10
	v_lshrrev_b32_e32 v3, 16, v3
	v_lshrrev_b32_e32 v20, v16, v17
	s_wait_alu 0xfffd
	v_cndmask_b32_e64 v8, 0, 1, vcc_lo
	v_cmp_gt_i32_e32 vcc_lo, 31, v18
	s_delay_alu instid0(VALU_DEP_3) | instskip(NEXT) | instid1(VALU_DEP_3)
	v_lshlrev_b32_e32 v16, v16, v20
	v_lshl_or_b32 v8, v8, 9, 0x7c00
	s_wait_alu 0xfffd
	v_cndmask_b32_e32 v15, 0x7c00, v15, vcc_lo
	v_cmp_ne_u32_e32 vcc_lo, 0, v12
	s_wait_alu 0xfffd
	v_cndmask_b32_e64 v12, 0, 1, vcc_lo
	v_cmp_ne_u32_e32 vcc_lo, v16, v17
	v_sub_nc_u32_e32 v17, 0x3f1, v22
	v_and_or_b32 v4, 0x1ff, v5, v4
	s_delay_alu instid0(VALU_DEP_4)
	v_and_or_b32 v12, 0xffe, v21, v12
	s_wait_alu 0xfffd
	v_cndmask_b32_e64 v16, 0, 1, vcc_lo
	v_cmp_eq_u32_e32 vcc_lo, 0x40f, v18
	v_med3_i32 v17, v17, 0, 13
	v_bfe_u32 v21, v5, 20, 11
	v_or_b32_e32 v18, 0x1000, v12
	s_wait_alu 0xfffd
	v_cndmask_b32_e32 v8, v15, v8, vcc_lo
	v_or_b32_e32 v15, v20, v16
	v_lshl_or_b32 v16, v10, 12, v2
	v_cmp_gt_i32_e32 vcc_lo, 1, v10
	v_lshrrev_b32_e32 v20, 8, v5
	v_and_or_b32 v8, 0x8000, v9, v8
	v_sub_nc_u32_e32 v9, 0x3f1, v21
	v_lshrrev_b32_e32 v5, 16, v5
	s_wait_alu 0xfffd
	v_cndmask_b32_e32 v15, v16, v15, vcc_lo
	v_lshrrev_b32_e32 v16, v17, v18
	v_cmp_ne_u32_e32 vcc_lo, 0, v4
	v_med3_i32 v9, v9, 0, 13
	v_and_b32_e32 v8, 0xffff, v8
	v_and_b32_e32 v23, 7, v15
	v_lshlrev_b32_e32 v17, v17, v16
	s_wait_alu 0xfffd
	v_cndmask_b32_e64 v4, 0, 1, vcc_lo
	v_lshrrev_b32_e32 v15, 2, v15
	v_cmp_lt_i32_e32 vcc_lo, 5, v23
	v_cmp_ne_u32_e64 s0, v17, v18
	s_delay_alu instid0(VALU_DEP_4) | instskip(SKIP_2) | instid1(VALU_DEP_3)
	v_and_or_b32 v4, 0xffe, v20, v4
	v_add_nc_u32_e32 v20, 0xfffffc10, v22
	s_wait_alu 0xf1ff
	v_cndmask_b32_e64 v17, 0, 1, s0
	v_cmp_eq_u32_e64 s0, 3, v23
	v_or_b32_e32 v18, 0x1000, v4
	v_lshl_or_b32 v22, v20, 12, v12
	s_delay_alu instid0(VALU_DEP_4) | instskip(NEXT) | instid1(VALU_DEP_4)
	v_or_b32_e32 v16, v16, v17
	s_or_b32 vcc_lo, s0, vcc_lo
	s_delay_alu instid0(VALU_DEP_3)
	v_lshrrev_b32_e32 v17, v9, v18
	s_wait_alu 0xfffe
	v_add_co_ci_u32_e32 v15, vcc_lo, 0, v15, vcc_lo
	v_cmp_gt_i32_e32 vcc_lo, 1, v20
	s_wait_alu 0xfffd
	v_dual_cndmask_b32 v16, v22, v16 :: v_dual_lshlrev_b32 v9, v9, v17
	v_cmp_ne_u32_e32 vcc_lo, 0, v2
	s_wait_alu 0xfffd
	v_cndmask_b32_e64 v2, 0, 1, vcc_lo
	s_delay_alu instid0(VALU_DEP_3) | instskip(SKIP_2) | instid1(VALU_DEP_4)
	v_cmp_ne_u32_e32 vcc_lo, v9, v18
	v_add_nc_u32_e32 v18, 0xfffffc10, v21
	v_and_b32_e32 v21, 7, v16
	v_lshl_or_b32 v2, v2, 9, 0x7c00
	s_wait_alu 0xfffd
	v_cndmask_b32_e64 v9, 0, 1, vcc_lo
	v_cmp_gt_i32_e32 vcc_lo, 31, v10
	v_cmp_gt_i32_e64 s1, 1, v18
	v_cmp_eq_u32_e64 s0, 3, v21
	s_delay_alu instid0(VALU_DEP_4)
	v_or_b32_e32 v9, v17, v9
	v_lshl_or_b32 v17, v18, 12, v4
	s_wait_alu 0xfffd
	v_cndmask_b32_e32 v15, 0x7c00, v15, vcc_lo
	v_cmp_lt_i32_e32 vcc_lo, 5, v21
	s_wait_alu 0xf1ff
	v_cndmask_b32_e64 v9, v17, v9, s1
	v_cmp_eq_u32_e64 s1, 0x40f, v10
	v_lshrrev_b32_e32 v10, 2, v16
	s_or_b32 vcc_lo, s0, vcc_lo
	s_delay_alu instid0(VALU_DEP_2) | instskip(SKIP_1) | instid1(VALU_DEP_2)
	v_cndmask_b32_e64 v2, v15, v2, s1
	s_wait_alu 0xfffe
	v_add_co_ci_u32_e32 v10, vcc_lo, 0, v10, vcc_lo
	v_and_b32_e32 v15, 7, v9
	v_cmp_ne_u32_e32 vcc_lo, 0, v12
	v_lshrrev_b32_e32 v9, 2, v9
	v_cmp_gt_i32_e64 s1, 31, v20
	s_delay_alu instid0(VALU_DEP_4)
	v_cmp_eq_u32_e64 s0, 3, v15
	s_wait_alu 0xfffd
	v_cndmask_b32_e64 v12, 0, 1, vcc_lo
	v_cmp_lt_i32_e32 vcc_lo, 5, v15
	s_wait_alu 0xf1ff
	v_cndmask_b32_e64 v10, 0x7c00, v10, s1
	s_delay_alu instid0(VALU_DEP_3)
	v_lshl_or_b32 v12, v12, 9, 0x7c00
	s_or_b32 vcc_lo, s0, vcc_lo
	s_wait_alu 0xfffe
	v_add_co_ci_u32_e32 v9, vcc_lo, 0, v9, vcc_lo
	v_cmp_ne_u32_e32 vcc_lo, 0, v4
	s_wait_alu 0xfffd
	v_cndmask_b32_e64 v4, 0, 1, vcc_lo
	v_cmp_eq_u32_e32 vcc_lo, 0x40f, v20
	s_delay_alu instid0(VALU_DEP_2)
	v_lshl_or_b32 v4, v4, 9, 0x7c00
	s_wait_alu 0xfffd
	v_cndmask_b32_e32 v10, v10, v12, vcc_lo
	v_cmp_gt_i32_e32 vcc_lo, 31, v18
	v_lshrrev_b32_e32 v12, 16, v13
	v_and_or_b32 v13, 0x8000, v3, v2
	s_wait_alu 0xfffd
	v_cndmask_b32_e32 v9, 0x7c00, v9, vcc_lo
	v_cmp_eq_u32_e32 vcc_lo, 0x40f, v18
	v_and_or_b32 v10, 0x8000, v12, v10
	v_lshl_or_b32 v12, v13, 16, v8
	s_wait_alu 0xfffd
	s_delay_alu instid0(VALU_DEP_2) | instskip(SKIP_3) | instid1(VALU_DEP_3)
	v_dual_cndmask_b32 v4, v9, v4 :: v_dual_and_b32 v9, 0xffff, v10
	v_add_co_u32 v2, vcc_lo, v0, s2
	s_wait_alu 0xfffd
	v_add_co_ci_u32_e32 v3, vcc_lo, s3, v1, vcc_lo
	v_and_or_b32 v8, 0x8000, v5, v4
	s_delay_alu instid0(VALU_DEP_3) | instskip(SKIP_1) | instid1(VALU_DEP_3)
	v_add_co_u32 v4, vcc_lo, v2, s2
	s_wait_alu 0xfffd
	v_add_co_ci_u32_e32 v5, vcc_lo, s3, v3, vcc_lo
	s_delay_alu instid0(VALU_DEP_3) | instskip(NEXT) | instid1(VALU_DEP_3)
	v_lshl_or_b32 v10, v8, 16, v9
	v_add_co_u32 v8, vcc_lo, v4, s2
	s_wait_alu 0xfffd
	s_delay_alu instid0(VALU_DEP_3)
	v_add_co_ci_u32_e32 v9, vcc_lo, s3, v5, vcc_lo
	s_clause 0x3
	global_store_b32 v[6:7], v19, off
	global_store_b32 v[0:1], v14, off
	;; [unrolled: 1-line block ×5, first 2 shown]
.LBB0_10:
	s_nop 0
	s_sendmsg sendmsg(MSG_DEALLOC_VGPRS)
	s_endpgm
	.section	.rodata,"a",@progbits
	.p2align	6, 0x0
	.amdhsa_kernel bluestein_single_fwd_len78_dim1_half_op_CI_CI
		.amdhsa_group_segment_fixed_size 5928
		.amdhsa_private_segment_fixed_size 0
		.amdhsa_kernarg_size 104
		.amdhsa_user_sgpr_count 2
		.amdhsa_user_sgpr_dispatch_ptr 0
		.amdhsa_user_sgpr_queue_ptr 0
		.amdhsa_user_sgpr_kernarg_segment_ptr 1
		.amdhsa_user_sgpr_dispatch_id 0
		.amdhsa_user_sgpr_private_segment_size 0
		.amdhsa_wavefront_size32 1
		.amdhsa_uses_dynamic_stack 0
		.amdhsa_enable_private_segment 0
		.amdhsa_system_sgpr_workgroup_id_x 1
		.amdhsa_system_sgpr_workgroup_id_y 0
		.amdhsa_system_sgpr_workgroup_id_z 0
		.amdhsa_system_sgpr_workgroup_info 0
		.amdhsa_system_vgpr_workitem_id 0
		.amdhsa_next_free_vgpr 227
		.amdhsa_next_free_sgpr 20
		.amdhsa_reserve_vcc 1
		.amdhsa_float_round_mode_32 0
		.amdhsa_float_round_mode_16_64 0
		.amdhsa_float_denorm_mode_32 3
		.amdhsa_float_denorm_mode_16_64 3
		.amdhsa_fp16_overflow 0
		.amdhsa_workgroup_processor_mode 1
		.amdhsa_memory_ordered 1
		.amdhsa_forward_progress 0
		.amdhsa_round_robin_scheduling 0
		.amdhsa_exception_fp_ieee_invalid_op 0
		.amdhsa_exception_fp_denorm_src 0
		.amdhsa_exception_fp_ieee_div_zero 0
		.amdhsa_exception_fp_ieee_overflow 0
		.amdhsa_exception_fp_ieee_underflow 0
		.amdhsa_exception_fp_ieee_inexact 0
		.amdhsa_exception_int_div_zero 0
	.end_amdhsa_kernel
	.text
.Lfunc_end0:
	.size	bluestein_single_fwd_len78_dim1_half_op_CI_CI, .Lfunc_end0-bluestein_single_fwd_len78_dim1_half_op_CI_CI
                                        ; -- End function
	.section	.AMDGPU.csdata,"",@progbits
; Kernel info:
; codeLenInByte = 14200
; NumSgprs: 22
; NumVgprs: 227
; ScratchSize: 0
; MemoryBound: 0
; FloatMode: 240
; IeeeMode: 1
; LDSByteSize: 5928 bytes/workgroup (compile time only)
; SGPRBlocks: 2
; VGPRBlocks: 28
; NumSGPRsForWavesPerEU: 22
; NumVGPRsForWavesPerEU: 227
; Occupancy: 6
; WaveLimiterHint : 1
; COMPUTE_PGM_RSRC2:SCRATCH_EN: 0
; COMPUTE_PGM_RSRC2:USER_SGPR: 2
; COMPUTE_PGM_RSRC2:TRAP_HANDLER: 0
; COMPUTE_PGM_RSRC2:TGID_X_EN: 1
; COMPUTE_PGM_RSRC2:TGID_Y_EN: 0
; COMPUTE_PGM_RSRC2:TGID_Z_EN: 0
; COMPUTE_PGM_RSRC2:TIDIG_COMP_CNT: 0
	.text
	.p2alignl 7, 3214868480
	.fill 96, 4, 3214868480
	.type	__hip_cuid_81e69b366f85000b,@object ; @__hip_cuid_81e69b366f85000b
	.section	.bss,"aw",@nobits
	.globl	__hip_cuid_81e69b366f85000b
__hip_cuid_81e69b366f85000b:
	.byte	0                               ; 0x0
	.size	__hip_cuid_81e69b366f85000b, 1

	.ident	"AMD clang version 19.0.0git (https://github.com/RadeonOpenCompute/llvm-project roc-6.4.0 25133 c7fe45cf4b819c5991fe208aaa96edf142730f1d)"
	.section	".note.GNU-stack","",@progbits
	.addrsig
	.addrsig_sym __hip_cuid_81e69b366f85000b
	.amdgpu_metadata
---
amdhsa.kernels:
  - .args:
      - .actual_access:  read_only
        .address_space:  global
        .offset:         0
        .size:           8
        .value_kind:     global_buffer
      - .actual_access:  read_only
        .address_space:  global
        .offset:         8
        .size:           8
        .value_kind:     global_buffer
      - .actual_access:  read_only
        .address_space:  global
        .offset:         16
        .size:           8
        .value_kind:     global_buffer
      - .actual_access:  read_only
        .address_space:  global
        .offset:         24
        .size:           8
        .value_kind:     global_buffer
      - .actual_access:  read_only
        .address_space:  global
        .offset:         32
        .size:           8
        .value_kind:     global_buffer
      - .offset:         40
        .size:           8
        .value_kind:     by_value
      - .address_space:  global
        .offset:         48
        .size:           8
        .value_kind:     global_buffer
      - .address_space:  global
        .offset:         56
        .size:           8
        .value_kind:     global_buffer
      - .address_space:  global
        .offset:         64
        .size:           8
        .value_kind:     global_buffer
      - .address_space:  global
        .offset:         72
        .size:           8
        .value_kind:     global_buffer
      - .offset:         80
        .size:           4
        .value_kind:     by_value
      - .address_space:  global
        .offset:         88
        .size:           8
        .value_kind:     global_buffer
      - .address_space:  global
        .offset:         96
        .size:           8
        .value_kind:     global_buffer
    .group_segment_fixed_size: 5928
    .kernarg_segment_align: 8
    .kernarg_segment_size: 104
    .language:       OpenCL C
    .language_version:
      - 2
      - 0
    .max_flat_workgroup_size: 247
    .name:           bluestein_single_fwd_len78_dim1_half_op_CI_CI
    .private_segment_fixed_size: 0
    .sgpr_count:     22
    .sgpr_spill_count: 0
    .symbol:         bluestein_single_fwd_len78_dim1_half_op_CI_CI.kd
    .uniform_work_group_size: 1
    .uses_dynamic_stack: false
    .vgpr_count:     227
    .vgpr_spill_count: 0
    .wavefront_size: 32
    .workgroup_processor_mode: 1
amdhsa.target:   amdgcn-amd-amdhsa--gfx1201
amdhsa.version:
  - 1
  - 2
...

	.end_amdgpu_metadata
